;; amdgpu-corpus repo=ROCm/rocFFT kind=compiled arch=gfx1030 opt=O3
	.text
	.amdgcn_target "amdgcn-amd-amdhsa--gfx1030"
	.amdhsa_code_object_version 6
	.protected	bluestein_single_back_len476_dim1_dp_op_CI_CI ; -- Begin function bluestein_single_back_len476_dim1_dp_op_CI_CI
	.globl	bluestein_single_back_len476_dim1_dp_op_CI_CI
	.p2align	8
	.type	bluestein_single_back_len476_dim1_dp_op_CI_CI,@function
bluestein_single_back_len476_dim1_dp_op_CI_CI: ; @bluestein_single_back_len476_dim1_dp_op_CI_CI
; %bb.0:
	s_mov_b64 s[62:63], s[2:3]
	s_mov_b64 s[60:61], s[0:1]
	s_load_dwordx4 s[0:3], s[4:5], 0x28
	v_mul_u32_u24_e32 v1, 0x788, v0
	s_add_u32 s60, s60, s7
	s_addc_u32 s61, s61, 0
	v_lshrrev_b32_e32 v1, 16, v1
	v_mad_u64_u32 v[3:4], null, s6, 3, v[1:2]
	v_mov_b32_e32 v4, 0
                                        ; kill: def $vgpr2 killed $sgpr0 killed $exec
	s_waitcnt lgkmcnt(0)
	v_cmp_gt_u64_e32 vcc_lo, s[0:1], v[3:4]
	s_and_saveexec_b32 s0, vcc_lo
	s_cbranch_execz .LBB0_15
; %bb.1:
	v_mul_hi_u32 v2, 0xaaaaaaab, v3
	v_mul_lo_u16 v1, v1, 34
	s_clause 0x1
	s_load_dwordx2 s[12:13], s[4:5], 0x0
	s_load_dwordx2 s[14:15], s[4:5], 0x38
	v_sub_nc_u16 v0, v0, v1
	v_mov_b32_e32 v1, v3
	v_lshrrev_b32_e32 v2, 1, v2
	v_and_b32_e32 v242, 0xffff, v0
	v_cmp_gt_u16_e32 vcc_lo, 28, v0
	v_lshl_add_u32 v2, v2, 1, v2
	buffer_store_dword v1, off, s[60:63], 0 offset:8 ; 4-byte Folded Spill
	buffer_store_dword v2, off, s[60:63], 0 offset:12 ; 4-byte Folded Spill
	v_or_b32_e32 v0, 0xe0, v242
	v_lshlrev_b32_e32 v255, 4, v242
	v_or_b32_e32 v241, 0x1c0, v242
	v_sub_nc_u32_e32 v1, v3, v2
	v_mul_u32_u24_e32 v1, 0x1dc, v1
	buffer_store_dword v0, off, s[60:63], 0 offset:96 ; 4-byte Folded Spill
	buffer_store_dword v1, off, s[60:63], 0 ; 4-byte Folded Spill
	v_lshlrev_b32_e32 v0, 4, v1
	buffer_store_dword v0, off, s[60:63], 0 offset:4 ; 4-byte Folded Spill
	s_and_saveexec_b32 s1, vcc_lo
	s_cbranch_execz .LBB0_3
; %bb.2:
	s_load_dwordx2 s[6:7], s[4:5], 0x18
	v_lshlrev_b32_e32 v28, 4, v241
	s_waitcnt lgkmcnt(0)
	v_add_co_u32 v20, s0, s12, v255
	v_add_co_ci_u32_e64 v21, null, s13, 0, s0
	v_or_b32_e32 v36, 0xe0, v242
	v_add_co_u32 v50, s0, 0x800, v20
	v_add_co_ci_u32_e64 v51, s0, 0, v21, s0
	v_add_co_u32 v78, s0, 0x1000, v20
	v_add_co_ci_u32_e64 v79, s0, 0, v21, s0
	;; [unrolled: 2-line block ×3, first 2 shown]
	v_lshlrev_b32_e32 v22, 4, v36
	s_load_dwordx4 s[8:11], s[6:7], 0x0
	s_clause 0x4
	global_load_dwordx4 v[0:3], v255, s[12:13]
	global_load_dwordx4 v[4:7], v255, s[12:13] offset:448
	global_load_dwordx4 v[8:11], v255, s[12:13] offset:896
	;; [unrolled: 1-line block ×4, first 2 shown]
	s_clause 0x1
	buffer_load_dword v23, off, s[60:63], 0 offset:8
	buffer_load_dword v24, off, s[60:63], 0 offset:12
	s_waitcnt lgkmcnt(0)
	v_mad_u64_u32 v[32:33], null, s8, v242, 0
	v_mad_u64_u32 v[38:39], null, s8, v241, 0
	s_mul_i32 s6, s9, 0x1c0
	s_mul_hi_u32 s7, s8, 0x1c0
	s_add_i32 s7, s7, s6
	v_mov_b32_e32 v27, v33
	s_waitcnt vmcnt(1)
	v_mov_b32_e32 v29, v23
	global_load_dwordx4 v[22:25], v22, s[12:13]
	v_mad_u64_u32 v[30:31], null, s10, v29, 0
	s_mul_i32 s10, s8, 0x1c0
	v_mov_b32_e32 v26, v31
	v_mad_u64_u32 v[33:34], null, s11, v29, v[26:27]
	v_mad_u64_u32 v[34:35], null, s9, v242, v[27:28]
	global_load_dwordx4 v[26:29], v28, s[12:13]
	v_mov_b32_e32 v31, v33
	v_mov_b32_e32 v33, v34
	v_mad_u64_u32 v[34:35], null, s8, v36, 0
	v_lshlrev_b64 v[30:31], 4, v[30:31]
	v_lshlrev_b64 v[32:33], 4, v[32:33]
	v_add_co_u32 v44, s0, s2, v30
	v_add_co_ci_u32_e64 v45, s0, s3, v31, s0
	v_mov_b32_e32 v30, v35
	v_add_co_u32 v40, s0, v44, v32
	v_add_co_ci_u32_e64 v41, s0, v45, v33, s0
	v_mov_b32_e32 v31, v39
	v_add_co_u32 v58, s0, v40, s10
	v_add_co_ci_u32_e64 v59, s0, s7, v41, s0
	v_mad_u64_u32 v[32:33], null, s9, v36, v[30:31]
	v_add_co_u32 v70, s0, v58, s10
	v_add_co_ci_u32_e64 v71, s0, s7, v59, s0
	v_add_co_u32 v82, s0, v70, s10
	v_add_co_ci_u32_e64 v83, s0, s7, v71, s0
	v_mad_u64_u32 v[30:31], null, s9, v241, v[31:32]
	v_add_co_u32 v86, s0, v82, s10
	v_add_co_ci_u32_e64 v87, s0, s7, v83, s0
	v_mov_b32_e32 v35, v32
	v_add_co_u32 v90, s0, v86, s10
	v_add_co_ci_u32_e64 v91, s0, s7, v87, s0
	v_mov_b32_e32 v39, v30
	v_add_co_u32 v94, s0, v90, s10
	v_add_co_ci_u32_e64 v95, s0, s7, v91, s0
	v_lshlrev_b64 v[42:43], 4, v[34:35]
	v_add_co_u32 v98, s0, v94, s10
	v_lshlrev_b64 v[38:39], 4, v[38:39]
	v_add_co_ci_u32_e64 v99, s0, s7, v95, s0
	v_add_co_u32 v42, s0, v44, v42
	v_add_co_ci_u32_e64 v43, s0, v45, v43, s0
	v_add_co_u32 v54, s0, v44, v38
	v_add_co_ci_u32_e64 v55, s0, v45, v39, s0
	s_clause 0x1
	global_load_dwordx4 v[30:33], v[50:51], off offset:192
	global_load_dwordx4 v[34:37], v[50:51], off offset:640
	s_clause 0x1
	global_load_dwordx4 v[38:41], v[40:41], off
	global_load_dwordx4 v[42:45], v[42:43], off
	s_clause 0x1
	global_load_dwordx4 v[46:49], v[50:51], off offset:1088
	global_load_dwordx4 v[50:53], v[50:51], off offset:1984
	s_clause 0x1
	global_load_dwordx4 v[54:57], v[54:55], off
	global_load_dwordx4 v[58:61], v[58:59], off
	v_mad_u64_u32 v[102:103], null, 0x380, s8, v[98:99]
	v_mov_b32_e32 v62, v103
	v_add_co_u32 v106, s0, v102, s10
	v_mad_u64_u32 v[96:97], null, 0x380, s9, v[62:63]
	s_clause 0x1
	global_load_dwordx4 v[62:65], v[78:79], off offset:384
	global_load_dwordx4 v[66:69], v[78:79], off offset:832
	global_load_dwordx4 v[70:73], v[70:71], off
	s_clause 0x1
	global_load_dwordx4 v[74:77], v[78:79], off offset:1280
	global_load_dwordx4 v[78:81], v[78:79], off offset:1728
	s_clause 0x1
	global_load_dwordx4 v[82:85], v[82:83], off
	global_load_dwordx4 v[86:89], v[86:87], off
	;; [unrolled: 1-line block ×4, first 2 shown]
	v_mov_b32_e32 v103, v96
	global_load_dwordx4 v[94:97], v[94:95], off
	v_add_co_ci_u32_e64 v107, s0, s7, v103, s0
	v_add_co_u32 v110, s0, v106, s10
	global_load_dwordx4 v[102:105], v[102:103], off
	v_add_co_ci_u32_e64 v111, s0, s7, v107, s0
	v_add_co_u32 v114, s0, v110, s10
	;; [unrolled: 3-line block ×5, first 2 shown]
	v_add_co_ci_u32_e64 v135, s0, s7, v123, s0
	global_load_dwordx4 v[118:121], v[118:119], off
	global_load_dwordx4 v[122:125], v[122:123], off
	s_clause 0x1
	global_load_dwordx4 v[126:129], v[20:21], off offset:128
	global_load_dwordx4 v[130:133], v[20:21], off offset:576
	global_load_dwordx4 v[134:137], v[134:135], off
	s_waitcnt vmcnt(24)
	v_mul_f64 v[20:21], v[40:41], v[2:3]
	v_mul_f64 v[2:3], v[38:39], v[2:3]
	s_waitcnt vmcnt(23)
	v_mul_f64 v[138:139], v[44:45], v[24:25]
	v_mul_f64 v[24:25], v[42:43], v[24:25]
	s_waitcnt vmcnt(19)
	v_mul_f64 v[142:143], v[60:61], v[6:7]
	v_mul_f64 v[144:145], v[58:59], v[6:7]
	v_mul_f64 v[140:141], v[56:57], v[28:29]
	v_mul_f64 v[150:151], v[54:55], v[28:29]
	s_waitcnt vmcnt(16)
	v_mul_f64 v[146:147], v[72:73], v[10:11]
	v_mul_f64 v[10:11], v[70:71], v[10:11]
	s_waitcnt vmcnt(13)
	;; [unrolled: 3-line block ×3, first 2 shown]
	v_mul_f64 v[28:29], v[88:89], v[18:19]
	v_mul_f64 v[152:153], v[86:87], v[18:19]
	v_fma_f64 v[18:19], v[38:39], v[0:1], v[20:21]
	v_fma_f64 v[20:21], v[40:41], v[0:1], -v[2:3]
	v_fma_f64 v[0:1], v[42:43], v[22:23], v[138:139]
	v_fma_f64 v[2:3], v[44:45], v[22:23], -v[24:25]
	s_waitcnt vmcnt(11)
	v_mul_f64 v[40:41], v[92:93], v[32:33]
	v_mul_f64 v[32:33], v[90:91], v[32:33]
	v_fma_f64 v[22:23], v[58:59], v[4:5], v[142:143]
	v_fma_f64 v[24:25], v[60:61], v[4:5], -v[144:145]
	s_waitcnt vmcnt(9)
	v_mul_f64 v[4:5], v[96:97], v[36:37]
	v_mul_f64 v[42:43], v[94:95], v[36:37]
	;; [unrolled: 1-line block ×3, first 2 shown]
	v_fma_f64 v[6:7], v[54:55], v[26:27], v[140:141]
	v_fma_f64 v[36:37], v[70:71], v[8:9], v[146:147]
	v_fma_f64 v[38:39], v[72:73], v[8:9], -v[10:11]
	v_mul_f64 v[8:9], v[100:101], v[48:49]
	v_fma_f64 v[10:11], v[82:83], v[12:13], v[148:149]
	v_fma_f64 v[12:13], v[84:85], v[12:13], -v[14:15]
	v_fma_f64 v[14:15], v[86:87], v[16:17], v[28:29]
	s_waitcnt vmcnt(8)
	v_mul_f64 v[48:49], v[104:105], v[52:53]
	v_mul_f64 v[52:53], v[102:103], v[52:53]
	s_waitcnt vmcnt(7)
	v_mul_f64 v[54:55], v[108:109], v[64:65]
	v_mul_f64 v[58:59], v[106:107], v[64:65]
	;; [unrolled: 3-line block ×3, first 2 shown]
	v_fma_f64 v[16:17], v[88:89], v[16:17], -v[152:153]
	v_fma_f64 v[28:29], v[90:91], v[30:31], v[40:41]
	v_fma_f64 v[30:31], v[92:93], v[30:31], -v[32:33]
	s_waitcnt vmcnt(5)
	v_mul_f64 v[68:69], v[116:117], v[76:77]
	v_mul_f64 v[70:71], v[114:115], v[76:77]
	v_fma_f64 v[32:33], v[94:95], v[34:35], v[4:5]
	buffer_load_dword v5, off, s[60:63], 0 offset:4 ; 4-byte Folded Reload
	s_waitcnt vmcnt(5)
	v_mul_f64 v[72:73], v[120:121], v[80:81]
	v_mul_f64 v[76:77], v[118:119], v[80:81]
	s_waitcnt vmcnt(3)
	v_mul_f64 v[80:81], v[124:125], v[128:129]
	v_mul_f64 v[82:83], v[122:123], v[128:129]
	;; [unrolled: 3-line block ×3, first 2 shown]
	v_fma_f64 v[34:35], v[96:97], v[34:35], -v[42:43]
	v_fma_f64 v[40:41], v[98:99], v[46:47], v[8:9]
	v_fma_f64 v[42:43], v[100:101], v[46:47], -v[44:45]
	v_fma_f64 v[44:45], v[102:103], v[50:51], v[48:49]
	v_fma_f64 v[46:47], v[104:105], v[50:51], -v[52:53]
	v_fma_f64 v[48:49], v[106:107], v[62:63], v[54:55]
	v_fma_f64 v[50:51], v[108:109], v[62:63], -v[58:59]
	v_fma_f64 v[52:53], v[110:111], v[66:67], v[60:61]
	v_fma_f64 v[54:55], v[112:113], v[66:67], -v[64:65]
	v_fma_f64 v[8:9], v[56:57], v[26:27], -v[150:151]
	v_fma_f64 v[58:59], v[114:115], v[74:75], v[68:69]
	v_fma_f64 v[60:61], v[116:117], v[74:75], -v[70:71]
	v_fma_f64 v[62:63], v[118:119], v[78:79], v[72:73]
	;; [unrolled: 2-line block ×4, first 2 shown]
	v_fma_f64 v[72:73], v[136:137], v[130:131], -v[128:129]
	s_waitcnt vmcnt(0)
	v_lshl_add_u32 v4, v242, 4, v5
	v_add_nc_u32_e32 v5, v5, v255
	ds_write_b128 v4, v[18:21]
	ds_write_b128 v5, v[0:3] offset:3584
	ds_write_b128 v5, v[22:25] offset:448
	;; [unrolled: 1-line block ×16, first 2 shown]
.LBB0_3:
	s_or_b32 exec_lo, exec_lo, s1
	s_clause 0x1
	s_load_dwordx2 s[0:1], s[4:5], 0x20
	s_load_dwordx2 s[2:3], s[4:5], 0x8
	s_waitcnt lgkmcnt(0)
	s_waitcnt_vscnt null, 0x0
	s_barrier
	buffer_gl0_inv
                                        ; implicit-def: $vgpr12_vgpr13
                                        ; implicit-def: $vgpr64_vgpr65
                                        ; implicit-def: $vgpr68_vgpr69
                                        ; implicit-def: $vgpr72_vgpr73
                                        ; implicit-def: $vgpr76_vgpr77
                                        ; implicit-def: $vgpr60_vgpr61
                                        ; implicit-def: $vgpr56_vgpr57
                                        ; implicit-def: $vgpr44_vgpr45
                                        ; implicit-def: $vgpr52_vgpr53
                                        ; implicit-def: $vgpr48_vgpr49
                                        ; implicit-def: $vgpr40_vgpr41
                                        ; implicit-def: $vgpr36_vgpr37
                                        ; implicit-def: $vgpr32_vgpr33
                                        ; implicit-def: $vgpr28_vgpr29
                                        ; implicit-def: $vgpr24_vgpr25
                                        ; implicit-def: $vgpr20_vgpr21
                                        ; implicit-def: $vgpr16_vgpr17
	s_and_saveexec_b32 s4, vcc_lo
	s_cbranch_execz .LBB0_5
; %bb.4:
	buffer_load_dword v0, off, s[60:63], 0  ; 4-byte Folded Reload
	s_waitcnt vmcnt(0)
	v_lshl_add_u32 v0, v0, 4, v255
	ds_read_b128 v[12:15], v0
	ds_read_b128 v[64:67], v0 offset:448
	ds_read_b128 v[68:71], v0 offset:896
	ds_read_b128 v[72:75], v0 offset:1344
	ds_read_b128 v[76:79], v0 offset:1792
	ds_read_b128 v[60:63], v0 offset:2240
	ds_read_b128 v[56:59], v0 offset:2688
	ds_read_b128 v[44:47], v0 offset:3136
	ds_read_b128 v[52:55], v0 offset:3584
	ds_read_b128 v[48:51], v0 offset:4032
	ds_read_b128 v[40:43], v0 offset:4480
	ds_read_b128 v[36:39], v0 offset:4928
	ds_read_b128 v[32:35], v0 offset:5376
	ds_read_b128 v[28:31], v0 offset:5824
	ds_read_b128 v[24:27], v0 offset:6272
	ds_read_b128 v[20:23], v0 offset:6720
	ds_read_b128 v[16:19], v0 offset:7168
.LBB0_5:
	s_or_b32 exec_lo, exec_lo, s4
	s_waitcnt lgkmcnt(0)
	v_add_f64 v[118:119], v[66:67], -v[18:19]
	v_add_f64 v[130:131], v[64:65], -v[16:17]
	s_mov_b32 s4, 0x5d8e7cdc
	s_mov_b32 s6, 0x2a9d6da3
	s_mov_b32 s18, 0x7c9e640b
	s_mov_b32 s5, 0xbfd71e95
	s_mov_b32 s7, 0xbfe58eea
	s_mov_b32 s19, 0xbfeca52d
	v_add_f64 v[116:117], v[64:65], v[16:17]
	v_add_f64 v[124:125], v[66:67], v[18:19]
	v_add_f64 v[88:89], v[70:71], -v[22:23]
	v_add_f64 v[80:81], v[68:69], -v[20:21]
	s_mov_b32 s8, 0x370991
	s_mov_b32 s10, 0x75d4884
	;; [unrolled: 1-line block ×10, first 2 shown]
	v_mul_f64 v[138:139], v[118:119], s[4:5]
	v_mul_f64 v[144:145], v[130:131], s[4:5]
	;; [unrolled: 1-line block ×6, first 2 shown]
	v_add_f64 v[82:83], v[68:69], v[20:21]
	v_add_f64 v[92:93], v[70:71], v[22:23]
	v_add_f64 v[94:95], v[74:75], -v[26:27]
	v_add_f64 v[84:85], v[72:73], -v[24:25]
	v_mul_f64 v[170:171], v[88:89], s[6:7]
	v_mul_f64 v[172:173], v[80:81], s[6:7]
	;; [unrolled: 1-line block ×6, first 2 shown]
	s_mov_b32 s22, 0x3259b75e
	s_mov_b32 s28, 0x6ed5f1bb
	;; [unrolled: 1-line block ×6, first 2 shown]
	v_fma_f64 v[0:1], v[116:117], s[8:9], v[138:139]
	v_fma_f64 v[2:3], v[124:125], s[8:9], -v[144:145]
	v_fma_f64 v[4:5], v[116:117], s[10:11], v[225:226]
	v_fma_f64 v[6:7], v[124:125], s[10:11], -v[231:232]
	;; [unrolled: 2-line block ×3, first 2 shown]
	v_add_f64 v[86:87], v[72:73], v[24:25]
	v_add_f64 v[96:97], v[74:75], v[26:27]
	v_add_f64 v[90:91], v[76:77], -v[28:29]
	v_add_f64 v[98:99], v[78:79], -v[30:31]
	v_mul_f64 v[177:178], v[94:95], s[18:19]
	v_mul_f64 v[185:186], v[84:85], s[18:19]
	v_fma_f64 v[112:113], v[82:83], s[10:11], v[170:171]
	v_fma_f64 v[114:115], v[92:93], s[10:11], -v[172:173]
	v_mul_f64 v[162:163], v[94:95], s[24:25]
	v_mul_f64 v[166:167], v[84:85], s[24:25]
	v_fma_f64 v[122:123], v[82:83], s[22:23], v[156:157]
	v_fma_f64 v[126:127], v[92:93], s[22:23], -v[158:159]
	v_mul_f64 v[152:153], v[94:95], s[30:31]
	v_mul_f64 v[154:155], v[84:85], s[30:31]
	v_fma_f64 v[132:133], v[82:83], s[28:29], v[148:149]
	v_fma_f64 v[134:135], v[92:93], s[28:29], -v[150:151]
	v_add_f64 v[0:1], v[12:13], v[0:1]
	v_add_f64 v[2:3], v[14:15], v[2:3]
	;; [unrolled: 1-line block ×6, first 2 shown]
	s_mov_b32 s40, 0x923c349f
	s_mov_b32 s34, 0x7faef3
	;; [unrolled: 1-line block ×6, first 2 shown]
	v_add_f64 v[100:101], v[76:77], v[28:29]
	v_add_f64 v[110:111], v[78:79], v[30:31]
	v_add_f64 v[102:103], v[60:61], -v[32:33]
	v_add_f64 v[108:109], v[62:63], -v[34:35]
	v_mul_f64 v[195:196], v[98:99], s[20:21]
	v_mul_f64 v[199:200], v[90:91], s[20:21]
	v_fma_f64 v[136:137], v[86:87], s[16:17], v[177:178]
	v_fma_f64 v[140:141], v[96:97], s[16:17], -v[185:186]
	v_fma_f64 v[142:143], v[96:97], s[28:29], -v[166:167]
	v_mul_f64 v[174:175], v[98:99], s[44:45]
	v_add_f64 v[0:1], v[112:113], v[0:1]
	v_add_f64 v[2:3], v[114:115], v[2:3]
	v_fma_f64 v[114:115], v[86:87], s[28:29], v[162:163]
	v_add_f64 v[4:5], v[122:123], v[4:5]
	v_add_f64 v[6:7], v[126:127], v[6:7]
	v_mul_f64 v[179:180], v[90:91], s[44:45]
	v_fma_f64 v[122:123], v[86:87], s[34:35], v[152:153]
	v_fma_f64 v[126:127], v[96:97], s[34:35], -v[154:155]
	v_add_f64 v[8:9], v[132:133], v[8:9]
	v_add_f64 v[10:11], v[134:135], v[10:11]
	v_mul_f64 v[160:161], v[98:99], s[40:41]
	v_mul_f64 v[164:165], v[90:91], s[40:41]
	s_mov_b32 s38, 0xc61f0d01
	s_mov_b32 s36, 0x4363dd80
	;; [unrolled: 1-line block ×8, first 2 shown]
	v_add_f64 v[104:105], v[60:61], v[32:33]
	v_add_f64 v[128:129], v[62:63], v[34:35]
	v_add_f64 v[106:107], v[56:57], -v[36:37]
	v_add_f64 v[120:121], v[58:59], -v[38:39]
	v_mul_f64 v[201:202], v[108:109], s[26:27]
	v_mul_f64 v[205:206], v[102:103], s[26:27]
	v_fma_f64 v[132:133], v[100:101], s[22:23], v[195:196]
	v_fma_f64 v[146:147], v[110:111], s[22:23], -v[199:200]
	v_add_f64 v[0:1], v[136:137], v[0:1]
	v_add_f64 v[2:3], v[140:141], v[2:3]
	;; [unrolled: 1-line block ×4, first 2 shown]
	v_fma_f64 v[140:141], v[100:101], s[34:35], v[174:175]
	v_fma_f64 v[142:143], v[110:111], s[34:35], -v[179:180]
	v_mul_f64 v[189:190], v[108:109], s[36:37]
	v_mul_f64 v[191:192], v[102:103], s[36:37]
	v_add_f64 v[8:9], v[122:123], v[8:9]
	v_add_f64 v[10:11], v[126:127], v[10:11]
	v_fma_f64 v[183:184], v[100:101], s[38:39], v[160:161]
	v_fma_f64 v[187:188], v[110:111], s[38:39], -v[164:165]
	v_mul_f64 v[168:169], v[108:109], s[50:51]
	v_mul_f64 v[181:182], v[102:103], s[50:51]
	s_mov_b32 s42, 0x910ea3b9
	s_mov_b32 s43, 0xbfeb34fa
	v_add_f64 v[112:113], v[56:57], v[36:37]
	v_add_f64 v[136:137], v[58:59], v[38:39]
	v_add_f64 v[114:115], v[44:45], -v[40:41]
	v_add_f64 v[134:135], v[46:47], -v[42:43]
	v_mul_f64 v[217:218], v[120:121], s[24:25]
	v_mul_f64 v[219:220], v[106:107], s[24:25]
	v_fma_f64 v[193:194], v[104:105], s[38:39], v[201:202]
	v_fma_f64 v[197:198], v[128:129], s[38:39], -v[205:206]
	v_add_f64 v[0:1], v[132:133], v[0:1]
	v_add_f64 v[2:3], v[146:147], v[2:3]
	;; [unrolled: 1-line block ×4, first 2 shown]
	v_fma_f64 v[132:133], v[104:105], s[42:43], v[189:190]
	v_fma_f64 v[146:147], v[128:129], s[42:43], -v[191:192]
	v_mul_f64 v[203:204], v[120:121], s[40:41]
	v_mul_f64 v[209:210], v[106:107], s[40:41]
	v_add_f64 v[8:9], v[183:184], v[8:9]
	v_add_f64 v[10:11], v[187:188], v[10:11]
	v_fma_f64 v[207:208], v[104:105], s[10:11], v[168:169]
	v_fma_f64 v[211:212], v[128:129], s[10:11], -v[181:182]
	v_mul_f64 v[183:184], v[120:121], s[4:5]
	v_mul_f64 v[187:188], v[106:107], s[4:5]
	s_mov_b32 s49, 0xbfe0d888
	s_mov_b32 s48, s36
	;; [unrolled: 1-line block ×4, first 2 shown]
	v_add_f64 v[122:123], v[44:45], v[40:41]
	v_add_f64 v[142:143], v[46:47], v[42:43]
	v_add_f64 v[126:127], v[52:53], -v[48:49]
	v_add_f64 v[140:141], v[54:55], -v[50:51]
	v_mul_f64 v[227:228], v[134:135], s[48:49]
	v_mul_f64 v[229:230], v[114:115], s[48:49]
	v_fma_f64 v[221:222], v[112:113], s[28:29], v[217:218]
	v_fma_f64 v[223:224], v[136:137], s[28:29], -v[219:220]
	v_add_f64 v[0:1], v[193:194], v[0:1]
	v_add_f64 v[2:3], v[197:198], v[2:3]
	;; [unrolled: 1-line block ×4, first 2 shown]
	v_fma_f64 v[243:244], v[112:113], s[38:39], v[203:204]
	v_fma_f64 v[245:246], v[136:137], s[38:39], -v[209:210]
	v_mul_f64 v[213:214], v[134:135], s[46:47]
	v_mul_f64 v[215:216], v[114:115], s[46:47]
	v_add_f64 v[8:9], v[207:208], v[8:9]
	v_add_f64 v[10:11], v[211:212], v[10:11]
	v_fma_f64 v[207:208], v[112:113], s[8:9], v[183:184]
	v_fma_f64 v[211:212], v[136:137], s[8:9], -v[187:188]
	v_mul_f64 v[193:194], v[134:135], s[20:21]
	v_mul_f64 v[197:198], v[114:115], s[20:21]
	s_mov_b32 s53, 0x3fd71e95
	s_mov_b32 s52, s4
	v_add_f64 v[132:133], v[52:53], v[48:49]
	v_add_f64 v[146:147], v[54:55], v[50:51]
	v_mul_f64 v[233:234], v[140:141], s[44:45]
	v_mul_f64 v[235:236], v[126:127], s[44:45]
	v_fma_f64 v[247:248], v[122:123], s[42:43], v[227:228]
	v_fma_f64 v[249:250], v[142:143], s[42:43], -v[229:230]
	v_add_f64 v[0:1], v[221:222], v[0:1]
	v_add_f64 v[2:3], v[223:224], v[2:3]
	v_mul_f64 v[221:222], v[140:141], s[52:53]
	v_mul_f64 v[223:224], v[126:127], s[52:53]
	v_add_f64 v[4:5], v[243:244], v[4:5]
	v_add_f64 v[6:7], v[245:246], v[6:7]
	v_fma_f64 v[243:244], v[122:123], s[16:17], v[213:214]
	v_fma_f64 v[245:246], v[142:143], s[16:17], -v[215:216]
	s_barrier
	v_add_f64 v[8:9], v[207:208], v[8:9]
	v_add_f64 v[10:11], v[211:212], v[10:11]
	v_fma_f64 v[251:252], v[122:123], s[22:23], v[193:194]
	v_fma_f64 v[253:254], v[142:143], s[22:23], -v[197:198]
	v_mul_f64 v[207:208], v[140:141], s[48:49]
	v_mul_f64 v[211:212], v[126:127], s[48:49]
	buffer_gl0_inv
	v_add_f64 v[0:1], v[247:248], v[0:1]
	v_fma_f64 v[247:248], v[132:133], s[34:35], v[233:234]
	v_add_f64 v[2:3], v[249:250], v[2:3]
	v_fma_f64 v[249:250], v[146:147], s[34:35], -v[235:236]
	v_add_f64 v[4:5], v[243:244], v[4:5]
	v_add_f64 v[6:7], v[245:246], v[6:7]
	v_fma_f64 v[243:244], v[132:133], s[8:9], v[221:222]
	v_fma_f64 v[245:246], v[146:147], s[8:9], -v[223:224]
	v_add_f64 v[8:9], v[251:252], v[8:9]
	v_add_f64 v[10:11], v[253:254], v[10:11]
	v_fma_f64 v[251:252], v[132:133], s[42:43], v[207:208]
	v_fma_f64 v[253:254], v[146:147], s[42:43], -v[211:212]
	v_add_f64 v[247:248], v[247:248], v[0:1]
	v_add_f64 v[249:250], v[249:250], v[2:3]
	;; [unrolled: 1-line block ×6, first 2 shown]
	s_and_saveexec_b32 s33, vcc_lo
	s_cbranch_execz .LBB0_7
; %bb.6:
	v_add_f64 v[64:65], v[12:13], v[64:65]
	v_add_f64 v[66:67], v[14:15], v[66:67]
	s_mov_b32 s55, 0x3fe9895b
	s_mov_b32 s54, s24
	s_mov_b32 s57, 0x3fefdd0d
	s_mov_b32 s56, s20
	buffer_load_dword v1, off, s[60:63], 0  ; 4-byte Folded Reload
	v_mul_lo_u16 v0, v242, 17
	v_and_b32_e32 v0, 0xffff, v0
	v_add_f64 v[64:65], v[64:65], v[68:69]
	v_add_f64 v[66:67], v[66:67], v[70:71]
	v_mul_f64 v[70:71], v[116:117], s[8:9]
	v_add_f64 v[64:65], v[64:65], v[72:73]
	v_add_f64 v[66:67], v[66:67], v[74:75]
	v_add_f64 v[70:71], v[70:71], -v[138:139]
	v_add_f64 v[64:65], v[64:65], v[76:77]
	v_add_f64 v[66:67], v[66:67], v[78:79]
	;; [unrolled: 1-line block ×8, first 2 shown]
	v_mul_f64 v[56:57], v[118:119], s[26:27]
	v_mul_f64 v[58:59], v[118:119], s[20:21]
	v_add_f64 v[44:45], v[44:45], v[52:53]
	v_add_f64 v[46:47], v[46:47], v[54:55]
	v_mul_f64 v[52:53], v[118:119], s[48:49]
	v_mul_f64 v[54:55], v[118:119], s[24:25]
	v_fma_f64 v[66:67], v[116:117], s[38:39], v[56:57]
	v_fma_f64 v[56:57], v[116:117], s[38:39], -v[56:57]
	v_fma_f64 v[68:69], v[116:117], s[22:23], v[58:59]
	v_fma_f64 v[58:59], v[116:117], s[22:23], -v[58:59]
	v_add_f64 v[44:45], v[44:45], v[48:49]
	v_add_f64 v[46:47], v[46:47], v[50:51]
	v_mul_f64 v[50:51], v[118:119], s[44:45]
	v_fma_f64 v[62:63], v[116:117], s[42:43], v[52:53]
	v_fma_f64 v[52:53], v[116:117], s[42:43], -v[52:53]
	v_fma_f64 v[64:65], v[116:117], s[28:29], v[54:55]
	v_fma_f64 v[54:55], v[116:117], s[28:29], -v[54:55]
	v_mul_f64 v[48:49], v[124:125], s[8:9]
	v_add_f64 v[66:67], v[12:13], v[66:67]
	v_add_f64 v[56:57], v[12:13], v[56:57]
	;; [unrolled: 1-line block ×6, first 2 shown]
	v_mul_f64 v[46:47], v[116:117], s[10:11]
	v_fma_f64 v[60:61], v[116:117], s[34:35], v[50:51]
	v_fma_f64 v[50:51], v[116:117], s[34:35], -v[50:51]
	v_mul_f64 v[44:45], v[124:125], s[10:11]
	v_add_f64 v[62:63], v[12:13], v[62:63]
	v_add_f64 v[52:53], v[12:13], v[52:53]
	;; [unrolled: 1-line block ×7, first 2 shown]
	v_mul_f64 v[42:43], v[116:117], s[16:17]
	v_add_f64 v[46:47], v[46:47], -v[225:226]
	v_mul_f64 v[40:41], v[124:125], s[16:17]
	v_add_f64 v[60:61], v[12:13], v[60:61]
	v_add_f64 v[50:51], v[12:13], v[50:51]
	;; [unrolled: 1-line block ×3, first 2 shown]
	v_mul_f64 v[231:232], v[146:147], s[22:23]
	v_add_f64 v[32:33], v[36:37], v[32:33]
	v_add_f64 v[34:35], v[38:39], v[34:35]
	v_mul_f64 v[36:37], v[124:125], s[22:23]
	v_add_f64 v[42:43], v[42:43], -v[237:238]
	v_add_f64 v[40:41], v[239:240], v[40:41]
	v_mul_f64 v[237:238], v[140:141], s[56:57]
	v_add_f64 v[28:29], v[32:33], v[28:29]
	v_add_f64 v[30:31], v[34:35], v[30:31]
	v_mul_f64 v[32:33], v[124:125], s[38:39]
	v_fma_f64 v[38:39], v[130:131], s[56:57], v[36:37]
	v_add_f64 v[42:43], v[12:13], v[42:43]
	v_fma_f64 v[36:37], v[130:131], s[20:21], v[36:37]
	v_add_f64 v[40:41], v[14:15], v[40:41]
	v_add_f64 v[24:25], v[28:29], v[24:25]
	;; [unrolled: 1-line block ×3, first 2 shown]
	v_mul_f64 v[28:29], v[124:125], s[28:29]
	v_fma_f64 v[34:35], v[130:131], s[40:41], v[32:33]
	v_add_f64 v[118:119], v[14:15], v[38:39]
	v_add_f64 v[38:39], v[12:13], v[46:47]
	v_fma_f64 v[32:33], v[130:131], s[26:27], v[32:33]
	v_add_f64 v[20:21], v[24:25], v[20:21]
	v_mul_f64 v[24:25], v[124:125], s[42:43]
	v_add_f64 v[22:23], v[26:27], v[22:23]
	v_fma_f64 v[30:31], v[130:131], s[54:55], v[28:29]
	v_fma_f64 v[28:29], v[130:131], s[24:25], v[28:29]
	v_add_f64 v[78:79], v[14:15], v[34:35]
	v_add_f64 v[34:35], v[12:13], v[70:71]
	;; [unrolled: 1-line block ×4, first 2 shown]
	s_waitcnt vmcnt(0)
	v_add_lshl_u32 v0, v1, v0, 4
	v_add_f64 v[16:17], v[20:21], v[16:17]
	v_mul_f64 v[20:21], v[124:125], s[34:35]
	v_fma_f64 v[26:27], v[130:131], s[36:37], v[24:25]
	v_fma_f64 v[24:25], v[130:131], s[48:49], v[24:25]
	v_add_f64 v[18:19], v[22:23], v[18:19]
	v_add_f64 v[76:77], v[14:15], v[28:29]
	v_mul_f64 v[28:29], v[96:97], s[42:43]
	v_add_f64 v[74:75], v[14:15], v[30:31]
	v_add_f64 v[124:125], v[14:15], v[36:37]
	;; [unrolled: 1-line block ×3, first 2 shown]
	v_fma_f64 v[22:23], v[130:131], s[30:31], v[20:21]
	v_fma_f64 v[20:21], v[130:131], s[44:45], v[20:21]
	v_add_f64 v[72:73], v[14:15], v[24:25]
	v_mul_f64 v[24:25], v[92:93], s[8:9]
	v_add_f64 v[26:27], v[14:15], v[26:27]
	v_fma_f64 v[30:31], v[84:85], s[36:37], v[28:29]
	v_add_f64 v[22:23], v[14:15], v[22:23]
	v_add_f64 v[20:21], v[14:15], v[20:21]
	v_fma_f64 v[12:13], v[80:81], s[4:5], v[24:25]
	v_fma_f64 v[24:25], v[80:81], s[52:53], v[24:25]
	v_add_f64 v[12:13], v[12:13], v[22:23]
	v_mul_f64 v[22:23], v[88:89], s[52:53]
	v_add_f64 v[20:21], v[24:25], v[20:21]
	v_fma_f64 v[24:25], v[84:85], s[48:49], v[28:29]
	v_fma_f64 v[28:29], v[132:133], s[22:23], -v[237:238]
	v_add_f64 v[12:13], v[30:31], v[12:13]
	v_fma_f64 v[14:15], v[82:83], s[8:9], v[22:23]
	v_mul_f64 v[30:31], v[94:95], s[48:49]
	v_fma_f64 v[22:23], v[82:83], s[8:9], -v[22:23]
	v_add_f64 v[20:21], v[24:25], v[20:21]
	v_add_f64 v[14:15], v[14:15], v[60:61]
	v_fma_f64 v[44:45], v[86:87], s[42:43], v[30:31]
	v_add_f64 v[22:23], v[22:23], v[50:51]
	v_fma_f64 v[24:25], v[86:87], s[42:43], -v[30:31]
	v_mul_f64 v[30:31], v[88:89], s[46:47]
	v_add_f64 v[14:15], v[44:45], v[14:15]
	v_mul_f64 v[44:45], v[110:111], s[10:11]
	v_add_f64 v[22:23], v[24:25], v[22:23]
	v_fma_f64 v[46:47], v[90:91], s[6:7], v[44:45]
	v_fma_f64 v[24:25], v[90:91], s[50:51], v[44:45]
	v_mul_f64 v[44:45], v[96:97], s[22:23]
	v_add_f64 v[12:13], v[46:47], v[12:13]
	v_mul_f64 v[46:47], v[98:99], s[50:51]
	v_add_f64 v[20:21], v[24:25], v[20:21]
	v_fma_f64 v[48:49], v[100:101], s[10:11], v[46:47]
	v_fma_f64 v[24:25], v[100:101], s[10:11], -v[46:47]
	v_fma_f64 v[46:47], v[84:85], s[56:57], v[44:45]
	v_fma_f64 v[44:45], v[84:85], s[20:21], v[44:45]
	v_add_f64 v[14:15], v[48:49], v[14:15]
	v_mul_f64 v[48:49], v[128:129], s[28:29]
	v_add_f64 v[22:23], v[24:25], v[22:23]
	v_fma_f64 v[60:61], v[102:103], s[54:55], v[48:49]
	v_fma_f64 v[24:25], v[102:103], s[24:25], v[48:49]
	v_add_f64 v[12:13], v[60:61], v[12:13]
	v_mul_f64 v[60:61], v[108:109], s[24:25]
	v_add_f64 v[20:21], v[24:25], v[20:21]
	v_fma_f64 v[70:71], v[104:105], s[28:29], v[60:61]
	v_fma_f64 v[24:25], v[104:105], s[28:29], -v[60:61]
	v_add_f64 v[14:15], v[70:71], v[14:15]
	v_mul_f64 v[70:71], v[136:137], s[16:17]
	v_add_f64 v[22:23], v[24:25], v[22:23]
	v_fma_f64 v[130:131], v[106:107], s[18:19], v[70:71]
	v_fma_f64 v[24:25], v[106:107], s[46:47], v[70:71]
	v_add_f64 v[12:13], v[130:131], v[12:13]
	v_mul_f64 v[130:131], v[120:121], s[46:47]
	v_add_f64 v[20:21], v[24:25], v[20:21]
	v_fma_f64 v[138:139], v[112:113], s[16:17], v[130:131]
	v_fma_f64 v[24:25], v[112:113], s[16:17], -v[130:131]
	v_add_f64 v[14:15], v[138:139], v[14:15]
	v_mul_f64 v[138:139], v[142:143], s[38:39]
	v_add_f64 v[22:23], v[24:25], v[22:23]
	v_fma_f64 v[144:145], v[114:115], s[40:41], v[138:139]
	v_fma_f64 v[24:25], v[114:115], s[26:27], v[138:139]
	v_add_f64 v[12:13], v[144:145], v[12:13]
	v_mul_f64 v[144:145], v[134:135], s[26:27]
	v_add_f64 v[20:21], v[24:25], v[20:21]
	v_fma_f64 v[24:25], v[122:123], s[38:39], -v[144:145]
	v_fma_f64 v[225:226], v[122:123], s[38:39], v[144:145]
	v_add_f64 v[24:25], v[24:25], v[22:23]
	v_fma_f64 v[22:23], v[126:127], s[56:57], v[231:232]
	v_add_f64 v[225:226], v[225:226], v[14:15]
	v_fma_f64 v[14:15], v[126:127], s[20:21], v[231:232]
	v_mul_f64 v[231:232], v[146:147], s[38:39]
	v_add_f64 v[22:23], v[22:23], v[20:21]
	v_add_f64 v[20:21], v[28:29], v[24:25]
	v_mul_f64 v[28:29], v[92:93], s[16:17]
	v_add_f64 v[14:15], v[14:15], v[12:13]
	v_fma_f64 v[12:13], v[132:133], s[22:23], v[237:238]
	v_mul_f64 v[237:238], v[140:141], s[26:27]
	v_fma_f64 v[24:25], v[80:81], s[18:19], v[28:29]
	v_fma_f64 v[28:29], v[80:81], s[46:47], v[28:29]
	v_add_f64 v[12:13], v[12:13], v[225:226]
	v_add_f64 v[24:25], v[24:25], v[26:27]
	v_fma_f64 v[26:27], v[82:83], s[16:17], v[30:31]
	v_add_f64 v[28:29], v[28:29], v[72:73]
	v_fma_f64 v[30:31], v[82:83], s[16:17], -v[30:31]
	v_mul_f64 v[72:73], v[136:137], s[28:29]
	v_add_f64 v[24:25], v[46:47], v[24:25]
	v_mul_f64 v[46:47], v[94:95], s[20:21]
	v_add_f64 v[26:27], v[26:27], v[62:63]
	v_add_f64 v[30:31], v[30:31], v[52:53]
	;; [unrolled: 1-line block ×3, first 2 shown]
	v_mul_f64 v[52:53], v[110:111], s[22:23]
	v_add_f64 v[72:73], v[219:220], v[72:73]
	v_fma_f64 v[48:49], v[86:87], s[22:23], v[46:47]
	v_fma_f64 v[44:45], v[86:87], s[22:23], -v[46:47]
	v_fma_f64 v[46:47], v[132:133], s[38:39], -v[237:238]
	v_add_f64 v[52:53], v[199:200], v[52:53]
	v_add_f64 v[26:27], v[48:49], v[26:27]
	v_mul_f64 v[48:49], v[110:111], s[28:29]
	v_add_f64 v[30:31], v[44:45], v[30:31]
	v_fma_f64 v[50:51], v[90:91], s[24:25], v[48:49]
	v_fma_f64 v[44:45], v[90:91], s[54:55], v[48:49]
	v_mul_f64 v[48:49], v[96:97], s[16:17]
	v_add_f64 v[24:25], v[50:51], v[24:25]
	v_mul_f64 v[50:51], v[98:99], s[54:55]
	v_add_f64 v[28:29], v[44:45], v[28:29]
	v_add_f64 v[48:49], v[185:186], v[48:49]
	v_mul_f64 v[185:186], v[140:141], s[24:25]
	v_fma_f64 v[60:61], v[100:101], s[28:29], v[50:51]
	v_fma_f64 v[44:45], v[100:101], s[28:29], -v[50:51]
	v_mul_f64 v[50:51], v[86:87], s[16:17]
	v_add_f64 v[26:27], v[60:61], v[26:27]
	v_mul_f64 v[60:61], v[128:129], s[8:9]
	v_add_f64 v[30:31], v[44:45], v[30:31]
	v_add_f64 v[50:51], v[50:51], -v[177:178]
	v_mul_f64 v[177:178], v[142:143], s[8:9]
	v_fma_f64 v[62:63], v[102:103], s[52:53], v[60:61]
	v_fma_f64 v[44:45], v[102:103], s[4:5], v[60:61]
	v_mul_f64 v[60:61], v[100:101], s[22:23]
	v_add_f64 v[24:25], v[62:63], v[24:25]
	v_mul_f64 v[62:63], v[108:109], s[4:5]
	v_add_f64 v[28:29], v[44:45], v[28:29]
	v_add_f64 v[60:61], v[60:61], -v[195:196]
	v_fma_f64 v[70:71], v[104:105], s[8:9], v[62:63]
	v_fma_f64 v[44:45], v[104:105], s[8:9], -v[62:63]
	v_mul_f64 v[62:63], v[128:129], s[38:39]
	v_add_f64 v[26:27], v[70:71], v[26:27]
	v_mul_f64 v[70:71], v[136:137], s[34:35]
	v_add_f64 v[30:31], v[44:45], v[30:31]
	v_add_f64 v[62:63], v[205:206], v[62:63]
	v_fma_f64 v[130:131], v[106:107], s[30:31], v[70:71]
	v_fma_f64 v[44:45], v[106:107], s[44:45], v[70:71]
	v_mul_f64 v[70:71], v[104:105], s[38:39]
	v_add_f64 v[24:25], v[130:131], v[24:25]
	v_mul_f64 v[130:131], v[120:121], s[44:45]
	v_add_f64 v[28:29], v[44:45], v[28:29]
	v_add_f64 v[70:71], v[70:71], -v[201:202]
	v_fma_f64 v[138:139], v[112:113], s[34:35], v[130:131]
	v_fma_f64 v[44:45], v[112:113], s[34:35], -v[130:131]
	v_mul_f64 v[130:131], v[110:111], s[8:9]
	v_add_f64 v[26:27], v[138:139], v[26:27]
	v_mul_f64 v[138:139], v[142:143], s[10:11]
	v_add_f64 v[30:31], v[44:45], v[30:31]
	v_fma_f64 v[144:145], v[114:115], s[6:7], v[138:139]
	v_fma_f64 v[44:45], v[114:115], s[50:51], v[138:139]
	v_mul_f64 v[138:139], v[94:95], s[40:41]
	v_add_f64 v[24:25], v[144:145], v[24:25]
	v_mul_f64 v[144:145], v[134:135], s[50:51]
	v_add_f64 v[28:29], v[44:45], v[28:29]
	v_fma_f64 v[44:45], v[122:123], s[10:11], -v[144:145]
	v_fma_f64 v[225:226], v[122:123], s[10:11], v[144:145]
	v_mul_f64 v[144:145], v[98:99], s[52:53]
	v_add_f64 v[44:45], v[44:45], v[30:31]
	v_fma_f64 v[30:31], v[126:127], s[26:27], v[231:232]
	v_add_f64 v[225:226], v[225:226], v[26:27]
	v_fma_f64 v[26:27], v[126:127], s[40:41], v[231:232]
	v_add_f64 v[30:31], v[30:31], v[28:29]
	v_add_f64 v[28:29], v[46:47], v[44:45]
	v_mul_f64 v[44:45], v[92:93], s[10:11]
	v_mul_f64 v[46:47], v[82:83], s[10:11]
	v_add_f64 v[26:27], v[26:27], v[24:25]
	v_fma_f64 v[24:25], v[132:133], s[38:39], v[237:238]
	v_add_f64 v[44:45], v[172:173], v[44:45]
	v_add_f64 v[46:47], v[46:47], -v[170:171]
	v_mul_f64 v[170:171], v[98:99], s[18:19]
	v_mul_f64 v[172:173], v[136:137], s[22:23]
	v_mul_f64 v[98:99], v[98:99], s[48:49]
	v_add_f64 v[24:25], v[24:25], v[225:226]
	v_add_f64 v[32:33], v[44:45], v[32:33]
	;; [unrolled: 1-line block ×3, first 2 shown]
	v_mul_f64 v[44:45], v[112:113], s[28:29]
	v_mul_f64 v[46:47], v[142:143], s[42:43]
	v_add_f64 v[32:33], v[48:49], v[32:33]
	v_add_f64 v[34:35], v[50:51], v[34:35]
	v_add_f64 v[44:45], v[44:45], -v[217:218]
	v_mul_f64 v[48:49], v[122:123], s[42:43]
	v_add_f64 v[46:47], v[229:230], v[46:47]
	v_mul_f64 v[50:51], v[146:147], s[34:35]
	v_add_f64 v[32:33], v[52:53], v[32:33]
	v_add_f64 v[34:35], v[60:61], v[34:35]
	v_mul_f64 v[52:53], v[110:111], s[34:35]
	v_add_f64 v[48:49], v[48:49], -v[227:228]
	v_mul_f64 v[60:61], v[100:101], s[34:35]
	v_add_f64 v[50:51], v[235:236], v[50:51]
	v_add_f64 v[32:33], v[62:63], v[32:33]
	;; [unrolled: 1-line block ×4, first 2 shown]
	v_mul_f64 v[62:63], v[128:129], s[42:43]
	v_add_f64 v[60:61], v[60:61], -v[174:175]
	v_mul_f64 v[70:71], v[104:105], s[42:43]
	v_mul_f64 v[174:175], v[108:109], s[44:45]
	;; [unrolled: 1-line block ×3, first 2 shown]
	v_add_f64 v[32:33], v[72:73], v[32:33]
	v_add_f64 v[34:35], v[44:45], v[34:35]
	v_mul_f64 v[44:45], v[132:133], s[34:35]
	v_add_f64 v[62:63], v[191:192], v[62:63]
	v_mul_f64 v[72:73], v[136:137], s[38:39]
	v_add_f64 v[70:71], v[70:71], -v[189:190]
	v_add_f64 v[32:33], v[46:47], v[32:33]
	v_add_f64 v[46:47], v[48:49], v[34:35]
	v_add_f64 v[44:45], v[44:45], -v[233:234]
	v_mul_f64 v[48:49], v[96:97], s[28:29]
	v_add_f64 v[72:73], v[209:210], v[72:73]
	v_add_f64 v[34:35], v[50:51], v[32:33]
	v_mul_f64 v[50:51], v[86:87], s[28:29]
	v_add_f64 v[32:33], v[44:45], v[46:47]
	v_mul_f64 v[44:45], v[92:93], s[22:23]
	v_mul_f64 v[46:47], v[82:83], s[22:23]
	v_add_f64 v[48:49], v[166:167], v[48:49]
	v_mul_f64 v[166:167], v[94:95], s[50:51]
	v_mul_f64 v[94:95], v[94:95], s[4:5]
	v_add_f64 v[50:51], v[50:51], -v[162:163]
	v_mul_f64 v[162:163], v[140:141], s[50:51]
	v_add_f64 v[44:45], v[158:159], v[44:45]
	v_add_f64 v[46:47], v[46:47], -v[156:157]
	v_mul_f64 v[156:157], v[142:143], s[28:29]
	v_mul_f64 v[158:159], v[134:135], s[54:55]
	;; [unrolled: 1-line block ×3, first 2 shown]
	v_add_f64 v[36:37], v[44:45], v[36:37]
	v_add_f64 v[38:39], v[46:47], v[38:39]
	v_mul_f64 v[44:45], v[112:113], s[38:39]
	v_mul_f64 v[46:47], v[142:143], s[16:17]
	v_add_f64 v[36:37], v[48:49], v[36:37]
	v_add_f64 v[38:39], v[50:51], v[38:39]
	v_add_f64 v[44:45], v[44:45], -v[203:204]
	v_mul_f64 v[48:49], v[122:123], s[16:17]
	v_add_f64 v[46:47], v[215:216], v[46:47]
	v_mul_f64 v[50:51], v[146:147], s[8:9]
	v_add_f64 v[36:37], v[52:53], v[36:37]
	v_add_f64 v[38:39], v[60:61], v[38:39]
	v_mul_f64 v[60:61], v[92:93], s[42:43]
	v_add_f64 v[48:49], v[48:49], -v[213:214]
	v_fma_f64 v[52:53], v[86:87], s[10:11], -v[166:167]
	v_add_f64 v[50:51], v[223:224], v[50:51]
	v_add_f64 v[36:37], v[62:63], v[36:37]
	;; [unrolled: 1-line block ×3, first 2 shown]
	v_mul_f64 v[70:71], v[92:93], s[34:35]
	v_mul_f64 v[62:63], v[96:97], s[10:11]
	v_add_f64 v[36:37], v[72:73], v[36:37]
	v_add_f64 v[38:39], v[44:45], v[38:39]
	v_mul_f64 v[44:45], v[132:133], s[8:9]
	v_mul_f64 v[72:73], v[96:97], s[38:39]
	v_add_f64 v[36:37], v[46:47], v[36:37]
	v_add_f64 v[46:47], v[48:49], v[38:39]
	v_add_f64 v[44:45], v[44:45], -v[221:222]
	v_mul_f64 v[48:49], v[110:111], s[38:39]
	v_add_f64 v[38:39], v[50:51], v[36:37]
	v_mul_f64 v[50:51], v[86:87], s[34:35]
	v_add_f64 v[36:37], v[44:45], v[46:47]
	v_mul_f64 v[44:45], v[92:93], s[28:29]
	v_mul_f64 v[46:47], v[96:97], s[34:35]
	v_add_f64 v[48:49], v[164:165], v[48:49]
	v_mul_f64 v[164:165], v[88:89], s[36:37]
	v_add_f64 v[50:51], v[50:51], -v[152:153]
	v_mul_f64 v[152:153], v[136:137], s[42:43]
	v_add_f64 v[44:45], v[150:151], v[44:45]
	v_add_f64 v[46:47], v[154:155], v[46:47]
	v_mul_f64 v[150:151], v[108:109], s[18:19]
	v_mul_f64 v[154:155], v[120:121], s[48:49]
	;; [unrolled: 1-line block ×4, first 2 shown]
	v_add_f64 v[40:41], v[44:45], v[40:41]
	v_mul_f64 v[44:45], v[128:129], s[10:11]
	v_add_f64 v[40:41], v[46:47], v[40:41]
	v_mul_f64 v[46:47], v[82:83], s[28:29]
	;; [unrolled: 2-line block ×3, first 2 shown]
	v_add_f64 v[40:41], v[48:49], v[40:41]
	v_add_f64 v[46:47], v[46:47], -v[148:149]
	v_mul_f64 v[48:49], v[104:105], s[10:11]
	v_mul_f64 v[148:149], v[128:129], s[16:17]
	v_add_f64 v[40:41], v[44:45], v[40:41]
	v_add_f64 v[42:43], v[46:47], v[42:43]
	v_mul_f64 v[46:47], v[100:101], s[38:39]
	v_add_f64 v[48:49], v[48:49], -v[168:169]
	v_mul_f64 v[44:45], v[112:113], s[8:9]
	v_mul_f64 v[168:169], v[128:129], s[34:35]
	v_add_f64 v[42:43], v[50:51], v[42:43]
	v_add_f64 v[46:47], v[46:47], -v[160:161]
	v_mul_f64 v[160:161], v[146:147], s[10:11]
	v_add_f64 v[44:45], v[44:45], -v[183:184]
	v_fma_f64 v[50:51], v[84:85], s[50:51], v[62:63]
	v_mul_f64 v[183:184], v[146:147], s[28:29]
	v_fma_f64 v[62:63], v[84:85], s[6:7], v[62:63]
	v_add_f64 v[42:43], v[46:47], v[42:43]
	v_mul_f64 v[46:47], v[136:137], s[8:9]
	v_add_f64 v[42:43], v[48:49], v[42:43]
	v_add_f64 v[46:47], v[187:188], v[46:47]
	v_mul_f64 v[48:49], v[142:143], s[22:23]
	v_add_f64 v[42:43], v[44:45], v[42:43]
	v_add_f64 v[40:41], v[46:47], v[40:41]
	;; [unrolled: 1-line block ×3, first 2 shown]
	v_mul_f64 v[46:47], v[122:123], s[22:23]
	v_mul_f64 v[44:45], v[146:147], s[42:43]
	v_add_f64 v[40:41], v[48:49], v[40:41]
	v_add_f64 v[46:47], v[46:47], -v[193:194]
	v_add_f64 v[44:45], v[211:212], v[44:45]
	v_mul_f64 v[48:49], v[132:133], s[42:43]
	v_add_f64 v[46:47], v[46:47], v[42:43]
	v_add_f64 v[42:43], v[44:45], v[40:41]
	v_add_f64 v[48:49], v[48:49], -v[207:208]
	v_fma_f64 v[44:45], v[80:81], s[44:45], v[70:71]
	v_add_f64 v[40:41], v[48:49], v[46:47]
	v_add_f64 v[44:45], v[44:45], v[124:125]
	v_fma_f64 v[46:47], v[84:85], s[40:41], v[72:73]
	v_mul_f64 v[124:125], v[88:89], s[44:45]
	v_fma_f64 v[48:49], v[90:91], s[52:53], v[130:131]
	v_mul_f64 v[88:89], v[88:89], s[40:41]
	v_add_f64 v[44:45], v[46:47], v[44:45]
	v_fma_f64 v[46:47], v[82:83], s[34:35], -v[124:125]
	v_add_f64 v[44:45], v[48:49], v[44:45]
	v_add_f64 v[46:47], v[46:47], v[58:59]
	v_fma_f64 v[48:49], v[86:87], s[38:39], -v[138:139]
	v_mul_f64 v[58:59], v[96:97], s[8:9]
	v_add_f64 v[46:47], v[48:49], v[46:47]
	v_fma_f64 v[48:49], v[100:101], s[8:9], -v[144:145]
	v_add_f64 v[46:47], v[48:49], v[46:47]
	v_fma_f64 v[48:49], v[102:103], s[18:19], v[148:149]
	v_add_f64 v[44:45], v[48:49], v[44:45]
	v_fma_f64 v[48:49], v[104:105], s[16:17], -v[150:151]
	v_add_f64 v[46:47], v[48:49], v[46:47]
	v_fma_f64 v[48:49], v[106:107], s[48:49], v[152:153]
	;; [unrolled: 4-line block ×5, first 2 shown]
	v_fma_f64 v[60:61], v[80:81], s[48:49], v[60:61]
	v_add_f64 v[48:49], v[48:49], v[116:117]
	v_mul_f64 v[116:117], v[110:111], s[16:17]
	v_add_f64 v[60:61], v[60:61], v[78:79]
	v_add_f64 v[48:49], v[50:51], v[48:49]
	v_fma_f64 v[50:51], v[90:91], s[18:19], v[116:117]
	v_add_f64 v[60:61], v[62:63], v[60:61]
	v_fma_f64 v[62:63], v[90:91], s[46:47], v[116:117]
	v_add_f64 v[48:49], v[50:51], v[48:49]
	v_fma_f64 v[50:51], v[82:83], s[42:43], -v[164:165]
	v_add_f64 v[60:61], v[62:63], v[60:61]
	v_fma_f64 v[62:63], v[102:103], s[30:31], v[168:169]
	v_add_f64 v[50:51], v[50:51], v[56:57]
	v_mul_f64 v[56:57], v[92:93], s[38:39]
	v_add_f64 v[60:61], v[62:63], v[60:61]
	v_fma_f64 v[62:63], v[82:83], s[42:43], v[164:165]
	v_add_f64 v[50:51], v[52:53], v[50:51]
	v_fma_f64 v[52:53], v[102:103], s[44:45], v[168:169]
	;; [unrolled: 2-line block ×3, first 2 shown]
	v_add_f64 v[48:49], v[52:53], v[48:49]
	v_fma_f64 v[52:53], v[100:101], s[16:17], -v[170:171]
	v_add_f64 v[50:51], v[52:53], v[50:51]
	v_fma_f64 v[52:53], v[106:107], s[56:57], v[172:173]
	v_add_f64 v[48:49], v[52:53], v[48:49]
	v_fma_f64 v[52:53], v[104:105], s[34:35], -v[174:175]
	v_add_f64 v[50:51], v[52:53], v[50:51]
	v_fma_f64 v[52:53], v[114:115], s[4:5], v[177:178]
	v_add_f64 v[48:49], v[52:53], v[48:49]
	v_fma_f64 v[52:53], v[112:113], s[22:23], -v[179:180]
	v_add_f64 v[50:51], v[52:53], v[50:51]
	v_fma_f64 v[52:53], v[122:123], s[8:9], -v[181:182]
	v_add_f64 v[52:53], v[52:53], v[50:51]
	v_fma_f64 v[50:51], v[126:127], s[24:25], v[183:184]
	v_add_f64 v[50:51], v[50:51], v[48:49]
	v_fma_f64 v[48:49], v[132:133], s[28:29], -v[185:186]
	v_add_f64 v[48:49], v[48:49], v[52:53]
	v_fma_f64 v[52:53], v[80:81], s[40:41], v[56:57]
	v_fma_f64 v[56:57], v[80:81], s[26:27], v[56:57]
	v_add_f64 v[52:53], v[52:53], v[76:77]
	v_fma_f64 v[76:77], v[84:85], s[4:5], v[58:59]
	v_add_f64 v[56:57], v[56:57], v[74:75]
	v_fma_f64 v[58:59], v[84:85], s[52:53], v[58:59]
	v_fma_f64 v[74:75], v[132:133], s[16:17], v[140:141]
	v_add_f64 v[52:53], v[76:77], v[52:53]
	v_mul_f64 v[76:77], v[110:111], s[42:43]
	v_add_f64 v[56:57], v[58:59], v[56:57]
	v_fma_f64 v[92:93], v[90:91], s[48:49], v[76:77]
	v_fma_f64 v[58:59], v[90:91], s[36:37], v[76:77]
	v_add_f64 v[52:53], v[92:93], v[52:53]
	v_mul_f64 v[92:93], v[128:129], s[22:23]
	v_add_f64 v[56:57], v[58:59], v[56:57]
	v_fma_f64 v[96:97], v[102:103], s[56:57], v[92:93]
	v_fma_f64 v[58:59], v[102:103], s[20:21], v[92:93]
	v_add_f64 v[52:53], v[96:97], v[52:53]
	v_mul_f64 v[96:97], v[136:137], s[10:11]
	v_add_f64 v[56:57], v[58:59], v[56:57]
	v_mul_f64 v[136:137], v[146:147], s[16:17]
	v_fma_f64 v[110:111], v[106:107], s[6:7], v[96:97]
	v_fma_f64 v[58:59], v[106:107], s[50:51], v[96:97]
	v_add_f64 v[52:53], v[110:111], v[52:53]
	v_mul_f64 v[110:111], v[142:143], s[34:35]
	v_add_f64 v[56:57], v[58:59], v[56:57]
	v_fma_f64 v[128:129], v[114:115], s[44:45], v[110:111]
	v_fma_f64 v[58:59], v[114:115], s[30:31], v[110:111]
	v_add_f64 v[52:53], v[128:129], v[52:53]
	v_fma_f64 v[128:129], v[82:83], s[38:39], -v[88:89]
	v_add_f64 v[56:57], v[58:59], v[56:57]
	v_fma_f64 v[58:59], v[82:83], s[38:39], v[88:89]
	v_add_f64 v[54:55], v[128:129], v[54:55]
	v_fma_f64 v[128:129], v[86:87], s[8:9], -v[94:95]
	v_add_f64 v[58:59], v[58:59], v[64:65]
	;; [unrolled: 4-line block ×5, first 2 shown]
	v_fma_f64 v[64:65], v[112:113], s[10:11], v[120:121]
	v_add_f64 v[54:55], v[128:129], v[54:55]
	v_mul_f64 v[128:129], v[134:135], s[44:45]
	v_add_f64 v[58:59], v[64:65], v[58:59]
	v_fma_f64 v[64:65], v[122:123], s[34:35], v[128:129]
	v_fma_f64 v[134:135], v[122:123], s[34:35], -v[128:129]
	v_add_f64 v[64:65], v[64:65], v[58:59]
	v_fma_f64 v[58:59], v[126:127], s[18:19], v[136:137]
	v_add_f64 v[134:135], v[134:135], v[54:55]
	v_fma_f64 v[54:55], v[126:127], s[46:47], v[136:137]
	v_add_f64 v[58:59], v[58:59], v[56:57]
	v_add_f64 v[56:57], v[74:75], v[64:65]
	v_fma_f64 v[64:65], v[86:87], s[10:11], v[166:167]
	v_add_f64 v[54:55], v[54:55], v[52:53]
	v_fma_f64 v[52:53], v[132:133], s[16:17], -v[140:141]
	v_add_f64 v[62:63], v[64:65], v[62:63]
	v_fma_f64 v[64:65], v[100:101], s[16:17], v[170:171]
	v_add_f64 v[52:53], v[52:53], v[134:135]
	v_add_f64 v[62:63], v[64:65], v[62:63]
	v_fma_f64 v[64:65], v[104:105], s[34:35], v[174:175]
	v_add_f64 v[62:63], v[64:65], v[62:63]
	v_fma_f64 v[64:65], v[106:107], s[20:21], v[172:173]
	;; [unrolled: 2-line block ×6, first 2 shown]
	v_add_f64 v[62:63], v[62:63], v[60:61]
	v_add_f64 v[60:61], v[66:67], v[64:65]
	v_fma_f64 v[64:65], v[80:81], s[30:31], v[70:71]
	v_fma_f64 v[66:67], v[82:83], s[34:35], v[124:125]
	;; [unrolled: 1-line block ×4, first 2 shown]
	v_add_f64 v[64:65], v[64:65], v[118:119]
	v_add_f64 v[66:67], v[66:67], v[68:69]
	v_fma_f64 v[68:69], v[90:91], s[4:5], v[130:131]
	v_add_f64 v[64:65], v[70:71], v[64:65]
	v_add_f64 v[66:67], v[72:73], v[66:67]
	v_fma_f64 v[70:71], v[100:101], s[8:9], v[144:145]
	v_fma_f64 v[72:73], v[102:103], s[46:47], v[148:149]
	v_add_f64 v[64:65], v[68:69], v[64:65]
	v_fma_f64 v[68:69], v[104:105], s[16:17], v[150:151]
	v_add_f64 v[66:67], v[70:71], v[66:67]
	;; [unrolled: 2-line block ×8, first 2 shown]
	v_add_f64 v[66:67], v[72:73], v[64:65]
	v_add_f64 v[64:65], v[68:69], v[70:71]
	ds_write_b128 v0, v[16:19]
	ds_write_b128 v0, v[32:35] offset:16
	ds_write_b128 v0, v[36:39] offset:32
	ds_write_b128 v0, v[40:43] offset:48
	ds_write_b128 v0, v[44:47] offset:64
	ds_write_b128 v0, v[48:51] offset:80
	ds_write_b128 v0, v[52:55] offset:96
	ds_write_b128 v0, v[28:31] offset:112
	ds_write_b128 v0, v[20:23] offset:128
	ds_write_b128 v0, v[12:15] offset:144
	ds_write_b128 v0, v[24:27] offset:160
	ds_write_b128 v0, v[56:59] offset:176
	ds_write_b128 v0, v[60:63] offset:192
	ds_write_b128 v0, v[64:67] offset:208
	ds_write_b128 v0, v[251:254] offset:224
	ds_write_b128 v0, v[243:246] offset:240
	ds_write_b128 v0, v[247:250] offset:256
.LBB0_7:
	s_or_b32 exec_lo, exec_lo, s33
	v_add_nc_u16 v0, v242, 34
	s_load_dwordx4 s[4:7], s[0:1], 0x0
	v_add_co_u32 v2, s0, 0xffffffef, v242
	v_add_co_ci_u32_e64 v3, null, 0, -1, s0
	v_and_b32_e32 v1, 0xff, v0
	v_cmp_gt_u16_e64 s0, 17, v242
	v_add_nc_u16 v5, v242, 0x44
	v_mov_b32_e32 v4, 4
	v_add_nc_u16 v6, v242, 0xaa
	v_mul_lo_u16 v1, 0xf1, v1
	v_cndmask_b32_e64 v97, v3, 0, s0
	v_cndmask_b32_e64 v96, v2, v242, s0
	v_add_nc_u16 v2, v242, 0x66
	v_add_nc_u16 v3, v242, 0x88
	v_lshrrev_b16 v1, 12, v1
	v_and_b32_e32 v9, 0xff, v5
	v_lshlrev_b64 v[12:13], 4, v[96:97]
	v_and_b32_e32 v10, 0xff, v2
	v_add_nc_u16 v8, v242, 0xcc
	v_mul_lo_u16 v7, v1, 17
	v_and_b32_e32 v11, 0xff, v3
	s_waitcnt lgkmcnt(0)
	v_add_co_u32 v12, s0, s2, v12
	v_sub_nc_u16 v0, v0, v7
	v_add_co_ci_u32_e64 v13, s0, s3, v13, s0
	s_barrier
	buffer_gl0_inv
	v_lshlrev_b32_sdwa v7, v4, v0 dst_sel:DWORD dst_unused:UNUSED_PAD src0_sel:DWORD src1_sel:BYTE_0
	v_and_b32_e32 v14, 0xff, v6
	v_mul_lo_u16 v9, 0xf1, v9
	s_clause 0x1
	global_load_dwordx4 v[231:234], v[12:13], off
	global_load_dwordx4 v[227:230], v7, s[2:3]
	v_mul_lo_u16 v7, 0xf1, v10
	v_and_b32_e32 v10, 0xff, v8
	v_mul_lo_u16 v11, 0xf1, v11
	v_lshrrev_b16 v9, 12, v9
	v_mul_lo_u16 v12, 0xf1, v14
	v_lshrrev_b16 v7, 12, v7
	;; [unrolled: 2-line block ×5, first 2 shown]
	v_mul_lo_u16 v14, v11, 17
	v_sub_nc_u16 v5, v5, v13
	v_mul_lo_u16 v13, v36, 17
	v_sub_nc_u16 v2, v2, v12
	;; [unrolled: 2-line block ×3, first 2 shown]
	v_lshlrev_b32_sdwa v14, v4, v5 dst_sel:DWORD dst_unused:UNUSED_PAD src0_sel:DWORD src1_sel:BYTE_0
	v_sub_nc_u16 v6, v6, v13
	v_lshlrev_b32_sdwa v13, v4, v2 dst_sel:DWORD dst_unused:UNUSED_PAD src0_sel:DWORD src1_sel:BYTE_0
	v_sub_nc_u16 v8, v8, v12
	v_lshlrev_b32_sdwa v12, v4, v3 dst_sel:DWORD dst_unused:UNUSED_PAD src0_sel:DWORD src1_sel:BYTE_0
	global_load_dwordx4 v[47:50], v14, s[2:3]
	v_cmp_lt_u16_e64 s0, 16, v242
	global_load_dwordx4 v[51:54], v13, s[2:3]
	v_lshlrev_b32_sdwa v14, v4, v6 dst_sel:DWORD dst_unused:UNUSED_PAD src0_sel:DWORD src1_sel:BYTE_0
	v_lshlrev_b32_sdwa v4, v4, v8 dst_sel:DWORD dst_unused:UNUSED_PAD src0_sel:DWORD src1_sel:BYTE_0
	s_clause 0x2
	global_load_dwordx4 v[55:58], v12, s[2:3]
	global_load_dwordx4 v[43:46], v14, s[2:3]
	;; [unrolled: 1-line block ×3, first 2 shown]
	buffer_load_dword v38, off, s[60:63], 0 ; 4-byte Folded Reload
	v_cndmask_b32_e64 v4, 0, 34, s0
	v_mov_b32_e32 v37, 34
	v_mad_u16 v0, v1, 34, v0
	s_mov_b32 s10, 0x37e14327
	s_mov_b32 s0, 0x36b3c0b5
	v_add_nc_u32_e32 v4, v96, v4
	v_mul_u32_u24_sdwa v7, v7, v37 dst_sel:DWORD dst_unused:UNUSED_PAD src0_sel:WORD_0 src1_sel:DWORD
	v_mul_u32_u24_sdwa v10, v10, v37 dst_sel:DWORD dst_unused:UNUSED_PAD src0_sel:WORD_0 src1_sel:DWORD
	v_and_b32_e32 v0, 0xff, v0
	s_mov_b32 s18, 0xe976ee23
	s_mov_b32 s11, 0x3fe948f6
	v_add_nc_u32_sdwa v2, v7, v2 dst_sel:DWORD dst_unused:UNUSED_PAD src0_sel:DWORD src1_sel:BYTE_0
	s_mov_b32 s1, 0x3fac98ee
	s_mov_b32 s19, 0xbfe11646
	;; [unrolled: 1-line block ×14, first 2 shown]
	s_waitcnt vmcnt(0)
	v_add_lshl_u32 v239, v38, v242, 4
	ds_read_b128 v[12:15], v239 offset:3808
	ds_read_b128 v[16:19], v239 offset:4352
	;; [unrolled: 1-line block ×8, first 2 shown]
	ds_read_b128 v[72:75], v239
	ds_read_b128 v[76:79], v239 offset:544
	ds_read_b128 v[80:83], v239 offset:1088
	;; [unrolled: 1-line block ×5, first 2 shown]
	v_add_lshl_u32 v240, v38, v0, 4
	v_add_lshl_u32 v237, v38, v2, 4
	v_mul_hi_i32_i24_e32 v0, 0xffffffb0, v242
	s_waitcnt lgkmcnt(13)
	v_mul_f64 v[97:98], v[14:15], v[233:234]
	v_mul_f64 v[99:100], v[12:13], v[233:234]
	s_waitcnt lgkmcnt(11)
	v_mul_f64 v[105:106], v[22:23], v[49:50]
	s_waitcnt lgkmcnt(10)
	;; [unrolled: 2-line block ×5, first 2 shown]
	v_mul_f64 v[121:122], v[66:67], v[41:42]
	v_mul_f64 v[107:108], v[20:21], v[49:50]
	;; [unrolled: 1-line block ×8, first 2 shown]
	v_fma_f64 v[12:13], v[12:13], v[231:232], -v[97:98]
	v_fma_f64 v[14:15], v[14:15], v[231:232], v[99:100]
	v_fma_f64 v[20:21], v[20:21], v[47:48], -v[105:106]
	buffer_store_dword v47, off, s[60:63], 0 offset:48 ; 4-byte Folded Spill
	buffer_store_dword v48, off, s[60:63], 0 offset:52 ; 4-byte Folded Spill
	buffer_store_dword v49, off, s[60:63], 0 offset:56 ; 4-byte Folded Spill
	buffer_store_dword v50, off, s[60:63], 0 offset:60 ; 4-byte Folded Spill
	v_fma_f64 v[24:25], v[24:25], v[51:52], -v[109:110]
	buffer_store_dword v51, off, s[60:63], 0 offset:64 ; 4-byte Folded Spill
	buffer_store_dword v52, off, s[60:63], 0 offset:68 ; 4-byte Folded Spill
	buffer_store_dword v53, off, s[60:63], 0 offset:72 ; 4-byte Folded Spill
	buffer_store_dword v54, off, s[60:63], 0 offset:76 ; 4-byte Folded Spill
	;; [unrolled: 5-line block ×5, first 2 shown]
	v_fma_f64 v[16:17], v[16:17], v[227:228], -v[101:102]
	v_fma_f64 v[18:19], v[18:19], v[227:228], v[103:104]
	v_mad_u64_u32 v[64:65], null, 0x60, v242, s[2:3]
	s_waitcnt lgkmcnt(0)
	s_waitcnt_vscnt null, 0x0
	s_barrier
	buffer_gl0_inv
	s_mov_b32 s2, 0x429ad128
	s_mov_b32 s3, 0x3febfeb5
	v_add_f64 v[12:13], v[72:73], -v[12:13]
	v_add_f64 v[14:15], v[74:75], -v[14:15]
	;; [unrolled: 1-line block ×9, first 2 shown]
	v_fma_f64 v[72:73], v[72:73], 2.0, -v[12:13]
	v_fma_f64 v[74:75], v[74:75], 2.0, -v[14:15]
	;; [unrolled: 1-line block ×8, first 2 shown]
	v_fma_f64 v[22:23], v[22:23], v[47:48], v[107:108]
	v_fma_f64 v[26:27], v[26:27], v[51:52], v[111:112]
	v_add_lshl_u32 v111, v38, v4, 4
	v_fma_f64 v[30:31], v[30:31], v[55:56], v[115:116]
	v_mul_u32_u24_sdwa v4, v9, v37 dst_sel:DWORD dst_unused:UNUSED_PAD src0_sel:WORD_0 src1_sel:DWORD
	v_fma_f64 v[34:35], v[34:35], v[43:44], v[119:120]
	v_mul_u32_u24_sdwa v9, v11, v37 dst_sel:DWORD dst_unused:UNUSED_PAD src0_sel:WORD_0 src1_sel:DWORD
	;; [unrolled: 2-line block ×3, first 2 shown]
	v_add_nc_u32_sdwa v1, v4, v5 dst_sel:DWORD dst_unused:UNUSED_PAD src0_sel:DWORD src1_sel:BYTE_0
	v_add_nc_u32_sdwa v5, v10, v8 dst_sel:DWORD dst_unused:UNUSED_PAD src0_sel:DWORD src1_sel:BYTE_0
	;; [unrolled: 1-line block ×4, first 2 shown]
	v_add_lshl_u32 v238, v38, v1, 4
	v_add_lshl_u32 v176, v38, v5, 4
	;; [unrolled: 1-line block ×3, first 2 shown]
	v_mul_i32_i24_e32 v1, 0xffffffb0, v242
	v_add_lshl_u32 v236, v38, v4, 4
	v_add_f64 v[22:23], v[82:83], -v[22:23]
	v_add_f64 v[26:27], v[86:87], -v[26:27]
	;; [unrolled: 1-line block ×5, first 2 shown]
	v_fma_f64 v[66:67], v[68:69], 2.0, -v[96:97]
	v_fma_f64 v[82:83], v[82:83], 2.0, -v[22:23]
	;; [unrolled: 1-line block ×6, first 2 shown]
	ds_write_b128 v111, v[12:15] offset:272
	ds_write_b128 v111, v[72:75]
	ds_write_b128 v240, v[16:19] offset:272
	ds_write_b128 v240, v[76:79]
	ds_write_b128 v238, v[80:83]
	ds_write_b128 v238, v[20:23] offset:272
	ds_write_b128 v237, v[84:87]
	ds_write_b128 v237, v[24:27] offset:272
	;; [unrolled: 2-line block ×5, first 2 shown]
	s_waitcnt lgkmcnt(0)
	s_barrier
	buffer_gl0_inv
	s_clause 0x5
	global_load_dwordx4 v[20:23], v[64:65], off offset:272
	global_load_dwordx4 v[16:19], v[64:65], off offset:288
	;; [unrolled: 1-line block ×6, first 2 shown]
	ds_read_b128 v[66:69], v239 offset:1088
	ds_read_b128 v[70:73], v239 offset:2176
	;; [unrolled: 1-line block ×12, first 2 shown]
	s_waitcnt vmcnt(5) lgkmcnt(11)
	v_mul_f64 v[116:117], v[68:69], v[22:23]
	v_mul_f64 v[118:119], v[66:67], v[22:23]
	s_waitcnt vmcnt(4) lgkmcnt(10)
	v_mul_f64 v[120:121], v[72:73], v[18:19]
	v_mul_f64 v[122:123], v[70:71], v[18:19]
	;; [unrolled: 3-line block ×4, first 2 shown]
	v_mul_f64 v[124:125], v[76:77], v[14:15]
	v_mul_f64 v[126:127], v[74:75], v[14:15]
	s_waitcnt vmcnt(0) lgkmcnt(6)
	v_mul_f64 v[136:137], v[88:89], v[26:27]
	v_mul_f64 v[138:139], v[86:87], v[26:27]
	s_waitcnt lgkmcnt(5)
	v_mul_f64 v[140:141], v[92:93], v[22:23]
	v_mul_f64 v[142:143], v[90:91], v[22:23]
	s_waitcnt lgkmcnt(4)
	;; [unrolled: 3-line block ×4, first 2 shown]
	v_mul_f64 v[160:161], v[114:115], v[34:35]
	v_mul_f64 v[162:163], v[112:113], v[34:35]
	;; [unrolled: 1-line block ×6, first 2 shown]
	v_fma_f64 v[116:117], v[66:67], v[20:21], -v[116:117]
	v_fma_f64 v[118:119], v[68:69], v[20:21], v[118:119]
	v_fma_f64 v[120:121], v[70:71], v[16:17], -v[120:121]
	v_fma_f64 v[122:123], v[72:73], v[16:17], v[122:123]
	;; [unrolled: 2-line block ×12, first 2 shown]
	ds_read_b128 v[66:69], v239
	ds_read_b128 v[70:73], v239 offset:544
	s_waitcnt lgkmcnt(0)
	v_add_f64 v[124:125], v[116:117], v[78:79]
	v_add_f64 v[126:127], v[118:119], v[80:81]
	;; [unrolled: 1-line block ×4, first 2 shown]
	v_add_f64 v[78:79], v[116:117], -v[78:79]
	v_add_f64 v[80:81], v[118:119], -v[80:81]
	v_add_f64 v[116:117], v[74:75], v[86:87]
	v_add_f64 v[118:119], v[76:77], v[88:89]
	v_add_f64 v[74:75], v[86:87], -v[74:75]
	v_add_f64 v[76:77], v[88:89], -v[76:77]
	v_add_f64 v[86:87], v[90:91], v[106:107]
	v_add_f64 v[88:89], v[92:93], v[108:109]
	;; [unrolled: 4-line block ×3, first 2 shown]
	v_add_f64 v[82:83], v[120:121], -v[82:83]
	v_add_f64 v[84:85], v[122:123], -v[84:85]
	;; [unrolled: 1-line block ×4, first 2 shown]
	v_add_f64 v[112:113], v[98:99], v[102:103]
	v_add_f64 v[114:115], v[100:101], v[104:105]
	v_add_f64 v[98:99], v[102:103], -v[98:99]
	v_add_f64 v[100:101], v[104:105], -v[100:101]
	v_add_f64 v[102:103], v[128:129], v[124:125]
	v_add_f64 v[104:105], v[130:131], v[126:127]
	v_add_f64 v[120:121], v[128:129], -v[124:125]
	v_add_f64 v[122:123], v[130:131], -v[126:127]
	;; [unrolled: 1-line block ×6, first 2 shown]
	s_barrier
	buffer_gl0_inv
	v_add_f64 v[140:141], v[106:107], v[86:87]
	v_add_f64 v[142:143], v[108:109], v[88:89]
	;; [unrolled: 1-line block ×4, first 2 shown]
	v_add_f64 v[136:137], v[74:75], -v[82:83]
	v_add_f64 v[138:139], v[76:77], -v[84:85]
	;; [unrolled: 1-line block ×6, first 2 shown]
	v_add_f64 v[102:103], v[116:117], v[102:103]
	v_add_f64 v[104:105], v[118:119], v[104:105]
	v_add_f64 v[86:87], v[86:87], -v[112:113]
	v_add_f64 v[88:89], v[88:89], -v[114:115]
	;; [unrolled: 1-line block ×4, first 2 shown]
	v_add_f64 v[148:149], v[98:99], v[94:95]
	v_add_f64 v[150:151], v[100:101], v[96:97]
	v_add_f64 v[152:153], v[98:99], -v[94:95]
	v_add_f64 v[154:155], v[100:101], -v[96:97]
	;; [unrolled: 1-line block ×4, first 2 shown]
	v_add_f64 v[112:113], v[112:113], v[140:141]
	v_add_f64 v[114:115], v[114:115], v[142:143]
	v_add_f64 v[74:75], v[78:79], -v[74:75]
	v_add_f64 v[76:77], v[80:81], -v[76:77]
	v_add_f64 v[78:79], v[132:133], v[78:79]
	v_add_f64 v[80:81], v[134:135], v[80:81]
	v_mul_f64 v[116:117], v[124:125], s[10:11]
	v_mul_f64 v[118:119], v[126:127], s[10:11]
	;; [unrolled: 1-line block ×6, first 2 shown]
	v_add_f64 v[66:67], v[66:67], v[102:103]
	v_add_f64 v[68:69], v[68:69], v[104:105]
	v_mul_f64 v[136:137], v[82:83], s[2:3]
	v_mul_f64 v[138:139], v[84:85], s[2:3]
	v_add_f64 v[98:99], v[90:91], -v[98:99]
	v_add_f64 v[100:101], v[92:93], -v[100:101]
	v_add_f64 v[90:91], v[148:149], v[90:91]
	v_add_f64 v[92:93], v[150:151], v[92:93]
	v_mul_f64 v[86:87], v[86:87], s[10:11]
	v_mul_f64 v[88:89], v[88:89], s[10:11]
	;; [unrolled: 1-line block ×4, first 2 shown]
	v_add_f64 v[70:71], v[70:71], v[112:113]
	v_add_f64 v[72:73], v[72:73], v[114:115]
	v_mul_f64 v[152:153], v[94:95], s[2:3]
	v_mul_f64 v[154:155], v[96:97], s[2:3]
	;; [unrolled: 1-line block ×4, first 2 shown]
	v_fma_f64 v[128:129], v[128:129], s[0:1], v[116:117]
	v_fma_f64 v[130:131], v[130:131], s[0:1], v[118:119]
	v_fma_f64 v[124:125], v[120:121], s[20:21], -v[124:125]
	v_fma_f64 v[126:127], v[122:123], s[20:21], -v[126:127]
	;; [unrolled: 1-line block ×4, first 2 shown]
	v_fma_f64 v[120:121], v[74:75], s[24:25], v[132:133]
	v_fma_f64 v[122:123], v[76:77], s[24:25], v[134:135]
	;; [unrolled: 1-line block ×4, first 2 shown]
	v_fma_f64 v[74:75], v[74:75], s[26:27], -v[136:137]
	v_fma_f64 v[76:77], v[76:77], s[26:27], -v[138:139]
	;; [unrolled: 1-line block ×4, first 2 shown]
	v_fma_f64 v[106:107], v[106:107], s[0:1], v[86:87]
	v_fma_f64 v[108:109], v[108:109], s[0:1], v[88:89]
	;; [unrolled: 1-line block ×6, first 2 shown]
	v_fma_f64 v[98:99], v[98:99], s[26:27], -v[152:153]
	v_fma_f64 v[100:101], v[100:101], s[26:27], -v[154:155]
	;; [unrolled: 1-line block ×8, first 2 shown]
	v_fma_f64 v[120:121], v[78:79], s[22:23], v[120:121]
	v_fma_f64 v[122:123], v[80:81], s[22:23], v[122:123]
	v_add_f64 v[128:129], v[128:129], v[102:103]
	v_add_f64 v[130:131], v[130:131], v[104:105]
	v_fma_f64 v[144:145], v[78:79], s[22:23], v[74:75]
	v_fma_f64 v[146:147], v[80:81], s[22:23], v[76:77]
	v_add_f64 v[116:117], v[116:117], v[102:103]
	v_add_f64 v[118:119], v[118:119], v[104:105]
	;; [unrolled: 4-line block ×6, first 2 shown]
	v_add_f64 v[74:75], v[122:123], v[128:129]
	v_add_f64 v[76:77], v[130:131], -v[120:121]
	v_add_f64 v[94:95], v[128:129], -v[122:123]
	v_add_f64 v[96:97], v[120:121], v[130:131]
	v_add_f64 v[78:79], v[146:147], v[116:117]
	v_add_f64 v[80:81], v[118:119], -v[144:145]
	v_add_f64 v[90:91], v[116:117], -v[146:147]
	v_add_f64 v[92:93], v[144:145], v[118:119]
	v_add_f64 v[82:83], v[102:103], -v[142:143]
	v_add_f64 v[84:85], v[140:141], v[104:105]
	v_add_f64 v[86:87], v[142:143], v[102:103]
	v_add_f64 v[88:89], v[104:105], -v[140:141]
	v_add_f64 v[98:99], v[126:127], v[152:153]
	v_add_f64 v[100:101], v[154:155], -v[124:125]
	v_add_co_u32 v1, s0, v64, v1
	v_add_f64 v[102:103], v[150:151], v[156:157]
	v_add_f64 v[104:105], v[158:159], -v[148:149]
	v_add_f64 v[116:117], v[156:157], -v[150:151]
	v_add_f64 v[118:119], v[148:149], v[158:159]
	v_add_f64 v[106:107], v[112:113], -v[138:139]
	v_add_f64 v[108:109], v[136:137], v[114:115]
	v_add_f64 v[112:113], v[138:139], v[112:113]
	v_add_f64 v[114:115], v[114:115], -v[136:137]
	v_add_co_ci_u32_e64 v0, s0, v65, v0, s0
	v_add_f64 v[120:121], v[152:153], -v[126:127]
	v_add_f64 v[122:123], v[124:125], v[154:155]
	v_add_co_u32 v64, s0, 0x800, v1
	v_add_co_ci_u32_e64 v65, s0, 0, v0, s0
	v_add_co_u32 v124, s0, 0x1000, v1
	v_add_co_ci_u32_e64 v125, s0, 0, v0, s0
	ds_write_b128 v239, v[66:69]
	ds_write_b128 v239, v[70:73] offset:3808
	ds_write_b128 v239, v[74:77] offset:544
	;; [unrolled: 1-line block ×13, first 2 shown]
	v_add_co_u32 v88, s0, 0x1800, v1
	v_add_co_ci_u32_e64 v89, s0, 0, v0, s0
	s_waitcnt lgkmcnt(0)
	s_barrier
	buffer_gl0_inv
	s_clause 0x6
	global_load_dwordx4 v[68:71], v[64:65], off offset:1488
	global_load_dwordx4 v[64:67], v[64:65], off offset:2032
	;; [unrolled: 1-line block ×7, first 2 shown]
	ds_read_b128 v[92:95], v239 offset:3808
	ds_read_b128 v[96:99], v239 offset:4352
	ds_read_b128 v[100:103], v239 offset:4896
	ds_read_b128 v[104:107], v239 offset:5440
	ds_read_b128 v[112:115], v239 offset:5984
	ds_read_b128 v[116:119], v239 offset:6528
	ds_read_b128 v[120:123], v239 offset:7072
	ds_read_b128 v[124:127], v239 offset:3264
	ds_read_b128 v[132:135], v239
	ds_read_b128 v[136:139], v239 offset:544
	ds_read_b128 v[144:147], v239 offset:1088
	;; [unrolled: 1-line block ×5, first 2 shown]
	buffer_load_dword v0, off, s[60:63], 0 offset:4 ; 4-byte Folded Reload
	v_lshlrev_b32_e32 v1, 4, v242
	buffer_store_dword v1, off, s[60:63], 0 offset:100 ; 4-byte Folded Spill
	s_waitcnt vmcnt(7) lgkmcnt(13)
	v_mul_f64 v[108:109], v[94:95], v[70:71]
	v_mul_f64 v[128:129], v[92:93], v[70:71]
	s_waitcnt vmcnt(6) lgkmcnt(12)
	v_mul_f64 v[130:131], v[98:99], v[66:67]
	v_mul_f64 v[140:141], v[96:97], v[66:67]
	;; [unrolled: 3-line block ×7, first 2 shown]
	s_waitcnt vmcnt(0)
	v_lshl_add_u32 v110, v242, 4, v0
	v_fma_f64 v[92:93], v[92:93], v[68:69], -v[108:109]
	v_fma_f64 v[94:95], v[94:95], v[68:69], v[128:129]
	v_fma_f64 v[96:97], v[96:97], v[64:65], -v[130:131]
	v_fma_f64 v[98:99], v[98:99], v[64:65], v[140:141]
	;; [unrolled: 2-line block ×7, first 2 shown]
	s_waitcnt lgkmcnt(5)
	v_add_f64 v[168:169], v[132:133], -v[92:93]
	v_add_f64 v[170:171], v[134:135], -v[94:95]
	s_waitcnt lgkmcnt(4)
	v_add_f64 v[160:161], v[136:137], -v[96:97]
	v_add_f64 v[162:163], v[138:139], -v[98:99]
	;; [unrolled: 3-line block ×6, first 2 shown]
	v_add_f64 v[120:121], v[124:125], -v[118:119]
	v_add_f64 v[122:123], v[126:127], -v[122:123]
	v_add_nc_u32_e32 v92, v1, v0
	v_fma_f64 v[132:133], v[132:133], 2.0, -v[168:169]
	v_fma_f64 v[134:135], v[134:135], 2.0, -v[170:171]
	;; [unrolled: 1-line block ×14, first 2 shown]
	ds_write_b128 v110, v[168:171] offset:3808
	ds_write_b128 v110, v[160:163] offset:4352
	ds_write_b128 v110, v[132:135]
	ds_write_b128 v110, v[172:175] offset:544
	ds_write_b128 v110, v[164:167] offset:1088
	;; [unrolled: 1-line block ×11, first 2 shown]
	s_waitcnt lgkmcnt(0)
	s_waitcnt_vscnt null, 0x0
	s_barrier
	buffer_gl0_inv
	s_and_saveexec_b32 s1, vcc_lo
	s_cbranch_execz .LBB0_9
; %bb.8:
	s_add_u32 s2, s12, 0x1dc0
	s_addc_u32 s3, s13, 0
	v_or_b32_e32 v0, 0xe00, v255
	s_clause 0x5
	global_load_dwordx4 v[93:96], v255, s[2:3]
	global_load_dwordx4 v[97:100], v255, s[2:3] offset:448
	global_load_dwordx4 v[101:104], v255, s[2:3] offset:896
	;; [unrolled: 1-line block ×4, first 2 shown]
	global_load_dwordx4 v[116:119], v0, s[2:3]
	v_add_co_u32 v0, s0, s2, v255
	v_add_co_ci_u32_e64 v1, null, s3, 0, s0
	v_add_co_u32 v189, s0, 0x800, v0
	v_add_co_ci_u32_e64 v190, s0, 0, v1, s0
	s_clause 0x3
	global_load_dwordx4 v[177:180], v[189:190], off offset:192
	global_load_dwordx4 v[181:184], v[189:190], off offset:640
	;; [unrolled: 1-line block ×4, first 2 shown]
	v_add_co_u32 v217, s0, 0x1000, v0
	v_add_co_ci_u32_e64 v218, s0, 0, v1, s0
	s_clause 0x2
	global_load_dwordx4 v[193:196], v[217:218], off offset:384
	global_load_dwordx4 v[197:200], v[217:218], off offset:832
	;; [unrolled: 1-line block ×3, first 2 shown]
	ds_read_b128 v[205:208], v110
	ds_read_b128 v[209:212], v110 offset:448
	v_add_co_u32 v221, s0, 0x1800, v0
	v_add_co_ci_u32_e64 v222, s0, 0, v1, s0
	v_or_b32_e32 v0, 0x1c00, v255
	s_waitcnt vmcnt(12) lgkmcnt(1)
	v_mul_f64 v[213:214], v[207:208], v[95:96]
	v_mul_f64 v[95:96], v[205:206], v[95:96]
	s_waitcnt vmcnt(11) lgkmcnt(0)
	v_mul_f64 v[219:220], v[211:212], v[99:100]
	v_mul_f64 v[99:100], v[209:210], v[99:100]
	v_fma_f64 v[205:206], v[205:206], v[93:94], -v[213:214]
	v_fma_f64 v[207:208], v[207:208], v[93:94], v[95:96]
	ds_read_b128 v[93:96], v110 offset:896
	ds_read_b128 v[213:216], v110 offset:1344
	v_fma_f64 v[209:210], v[209:210], v[97:98], -v[219:220]
	v_fma_f64 v[211:212], v[211:212], v[97:98], v[99:100]
	s_waitcnt vmcnt(10) lgkmcnt(1)
	v_mul_f64 v[97:98], v[95:96], v[103:104]
	v_mul_f64 v[99:100], v[93:94], v[103:104]
	s_waitcnt vmcnt(9) lgkmcnt(0)
	v_mul_f64 v[219:220], v[215:216], v[107:108]
	v_mul_f64 v[107:108], v[213:214], v[107:108]
	v_fma_f64 v[93:94], v[93:94], v[101:102], -v[97:98]
	v_fma_f64 v[95:96], v[95:96], v[101:102], v[99:100]
	ds_read_b128 v[97:100], v110 offset:1792
	ds_read_b128 v[101:104], v110 offset:2240
	v_fma_f64 v[213:214], v[213:214], v[105:106], -v[219:220]
	v_fma_f64 v[215:216], v[215:216], v[105:106], v[107:108]
	ds_read_b128 v[105:108], v110 offset:3584
	s_waitcnt vmcnt(8) lgkmcnt(2)
	v_mul_f64 v[219:220], v[99:100], v[114:115]
	v_mul_f64 v[114:115], v[97:98], v[114:115]
	v_fma_f64 v[97:98], v[97:98], v[112:113], -v[219:220]
	v_fma_f64 v[99:100], v[99:100], v[112:113], v[114:115]
	ds_read_b128 v[112:115], v110 offset:4032
	s_waitcnt vmcnt(7) lgkmcnt(1)
	v_mul_f64 v[219:220], v[107:108], v[118:119]
	v_mul_f64 v[118:119], v[105:106], v[118:119]
	v_fma_f64 v[105:106], v[105:106], v[116:117], -v[219:220]
	s_waitcnt vmcnt(6)
	v_mul_f64 v[219:220], v[103:104], v[179:180]
	v_mul_f64 v[179:180], v[101:102], v[179:180]
	v_fma_f64 v[107:108], v[107:108], v[116:117], v[118:119]
	ds_read_b128 v[116:119], v110 offset:2688
	v_fma_f64 v[101:102], v[101:102], v[177:178], -v[219:220]
	v_fma_f64 v[103:104], v[103:104], v[177:178], v[179:180]
	ds_read_b128 v[177:180], v110 offset:3136
	s_waitcnt vmcnt(5) lgkmcnt(1)
	v_mul_f64 v[219:220], v[118:119], v[183:184]
	v_mul_f64 v[183:184], v[116:117], v[183:184]
	v_fma_f64 v[116:117], v[116:117], v[181:182], -v[219:220]
	v_fma_f64 v[118:119], v[118:119], v[181:182], v[183:184]
	s_waitcnt vmcnt(4) lgkmcnt(0)
	v_mul_f64 v[181:182], v[179:180], v[187:188]
	v_mul_f64 v[183:184], v[177:178], v[187:188]
	s_waitcnt vmcnt(3)
	v_mul_f64 v[219:220], v[114:115], v[191:192]
	v_mul_f64 v[191:192], v[112:113], v[191:192]
	v_fma_f64 v[177:178], v[177:178], v[185:186], -v[181:182]
	v_fma_f64 v[179:180], v[179:180], v[185:186], v[183:184]
	ds_read_b128 v[181:184], v110 offset:4480
	ds_read_b128 v[185:188], v110 offset:4928
	v_fma_f64 v[112:113], v[112:113], v[189:190], -v[219:220]
	v_fma_f64 v[114:115], v[114:115], v[189:190], v[191:192]
	s_waitcnt vmcnt(2) lgkmcnt(1)
	v_mul_f64 v[189:190], v[183:184], v[195:196]
	v_mul_f64 v[191:192], v[181:182], v[195:196]
	s_waitcnt vmcnt(1) lgkmcnt(0)
	v_mul_f64 v[219:220], v[187:188], v[199:200]
	v_mul_f64 v[199:200], v[185:186], v[199:200]
	v_fma_f64 v[181:182], v[181:182], v[193:194], -v[189:190]
	v_fma_f64 v[183:184], v[183:184], v[193:194], v[191:192]
	ds_read_b128 v[193:196], v110 offset:5376
	global_load_dwordx4 v[189:192], v[217:218], off offset:1728
	v_fma_f64 v[185:186], v[185:186], v[197:198], -v[219:220]
	v_fma_f64 v[187:188], v[187:188], v[197:198], v[199:200]
	ds_read_b128 v[197:200], v110 offset:5824
	s_waitcnt vmcnt(1) lgkmcnt(1)
	v_mul_f64 v[217:218], v[195:196], v[203:204]
	v_mul_f64 v[203:204], v[193:194], v[203:204]
	v_fma_f64 v[193:194], v[193:194], v[201:202], -v[217:218]
	v_fma_f64 v[195:196], v[195:196], v[201:202], v[203:204]
	global_load_dwordx4 v[201:204], v[221:222], off offset:128
	s_waitcnt vmcnt(1) lgkmcnt(0)
	v_mul_f64 v[217:218], v[199:200], v[191:192]
	v_mul_f64 v[191:192], v[197:198], v[191:192]
	v_fma_f64 v[197:198], v[197:198], v[189:190], -v[217:218]
	v_fma_f64 v[199:200], v[199:200], v[189:190], v[191:192]
	ds_read_b128 v[189:192], v110 offset:6272
	ds_read_b128 v[217:220], v110 offset:6720
	s_waitcnt vmcnt(0) lgkmcnt(1)
	v_mul_f64 v[223:224], v[191:192], v[203:204]
	v_mul_f64 v[203:204], v[189:190], v[203:204]
	v_fma_f64 v[189:190], v[189:190], v[201:202], -v[223:224]
	v_fma_f64 v[191:192], v[191:192], v[201:202], v[203:204]
	s_clause 0x1
	global_load_dwordx4 v[201:204], v[221:222], off offset:576
	global_load_dwordx4 v[221:224], v0, s[2:3]
	s_waitcnt vmcnt(1) lgkmcnt(0)
	v_mul_f64 v[225:226], v[219:220], v[203:204]
	v_mul_f64 v[203:204], v[217:218], v[203:204]
	v_fma_f64 v[217:218], v[217:218], v[201:202], -v[225:226]
	v_fma_f64 v[219:220], v[219:220], v[201:202], v[203:204]
	ds_read_b128 v[201:204], v110 offset:7168
	s_waitcnt vmcnt(0) lgkmcnt(0)
	v_mul_f64 v[225:226], v[203:204], v[223:224]
	v_mul_f64 v[223:224], v[201:202], v[223:224]
	v_fma_f64 v[201:202], v[201:202], v[221:222], -v[225:226]
	v_fma_f64 v[203:204], v[203:204], v[221:222], v[223:224]
	ds_write_b128 v110, v[205:208]
	ds_write_b128 v110, v[209:212] offset:448
	ds_write_b128 v110, v[93:96] offset:896
	ds_write_b128 v110, v[213:216] offset:1344
	ds_write_b128 v110, v[97:100] offset:1792
	ds_write_b128 v110, v[105:108] offset:3584
	ds_write_b128 v110, v[101:104] offset:2240
	ds_write_b128 v110, v[116:119] offset:2688
	ds_write_b128 v110, v[177:180] offset:3136
	ds_write_b128 v110, v[112:115] offset:4032
	ds_write_b128 v110, v[181:184] offset:4480
	ds_write_b128 v110, v[185:188] offset:4928
	ds_write_b128 v110, v[193:196] offset:5376
	ds_write_b128 v110, v[197:200] offset:5824
	ds_write_b128 v110, v[189:192] offset:6272
	ds_write_b128 v110, v[217:220] offset:6720
	ds_write_b128 v110, v[201:204] offset:7168
.LBB0_9:
	s_or_b32 exec_lo, exec_lo, s1
	s_waitcnt lgkmcnt(0)
	s_barrier
	buffer_gl0_inv
	s_and_saveexec_b32 s0, vcc_lo
	s_cbranch_execz .LBB0_11
; %bb.10:
	ds_read_b128 v[132:135], v110
	ds_read_b128 v[168:171], v110 offset:448
	ds_read_b128 v[172:175], v110 offset:896
	;; [unrolled: 1-line block ×16, first 2 shown]
.LBB0_11:
	s_or_b32 exec_lo, exec_lo, s0
	v_add_nc_u32_e32 v181, 0x440, v92
	v_add_nc_u32_e32 v180, 0x660, v92
	;; [unrolled: 1-line block ×5, first 2 shown]
	s_waitcnt lgkmcnt(0)
	s_barrier
	buffer_gl0_inv
	s_and_saveexec_b32 s33, vcc_lo
	s_cbranch_execz .LBB0_13
; %bb.12:
	v_mov_b32_e32 v47, v177
	buffer_store_dword v178, off, s[60:63], 0 offset:160 ; 4-byte Folded Spill
	v_add_f64 v[177:178], v[168:169], -v[247:248]
	v_add_f64 v[187:188], v[170:171], -v[249:250]
	s_mov_b32 s16, 0xacd6c6b4
	s_mov_b32 s17, 0xbfc7851a
	v_add_f64 v[205:206], v[172:173], -v[243:244]
	v_add_f64 v[223:224], v[170:171], v[249:250]
	v_add_f64 v[197:198], v[174:175], -v[245:246]
	v_add_f64 v[225:226], v[168:169], v[247:248]
	s_mov_b32 s20, 0x4363dd80
	s_mov_b32 s18, 0x5d8e7cdc
	;; [unrolled: 1-line block ×6, first 2 shown]
	v_add_f64 v[207:208], v[160:161], -v[251:252]
	v_add_f64 v[215:216], v[174:175], v[245:246]
	v_add_f64 v[213:214], v[162:163], -v[253:254]
	v_add_f64 v[217:218], v[172:173], v[243:244]
	s_mov_b32 s22, 0x7c9e640b
	s_mov_b32 s8, 0x910ea3b9
	;; [unrolled: 1-line block ×4, first 2 shown]
	v_mul_f64 v[92:93], v[177:178], s[16:17]
	v_mul_f64 v[94:95], v[187:188], s[16:17]
	;; [unrolled: 1-line block ×3, first 2 shown]
	s_mov_b32 s9, 0xbfeb34fa
	v_mul_f64 v[98:99], v[205:206], s[18:19]
	s_mov_b32 s3, 0x3fedd6d0
	v_mul_f64 v[100:101], v[197:198], s[18:19]
	buffer_store_dword v181, off, s[60:63], 0 offset:152 ; 4-byte Folded Spill
	v_add_f64 v[45:46], v[164:165], -v[120:121]
	v_add_f64 v[209:210], v[162:163], v[253:254]
	v_mul_f64 v[106:107], v[205:206], s[22:23]
	v_add_f64 v[62:63], v[166:167], -v[122:123]
	v_add_f64 v[211:212], v[160:161], v[251:252]
	v_mul_f64 v[118:119], v[187:188], s[20:21]
	v_mul_f64 v[114:115], v[207:208], s[20:21]
	buffer_store_dword v179, off, s[60:63], 0 offset:148 ; 4-byte Folded Spill
	buffer_store_dword v180, off, s[60:63], 0 offset:156 ; 4-byte Folded Spill
	v_mul_f64 v[116:117], v[213:214], s[20:21]
	s_mov_b32 s54, 0xeb564b22
	s_mov_b32 s10, 0x2b2883cd
	;; [unrolled: 1-line block ×5, first 2 shown]
	v_fma_f64 v[102:103], v[223:224], s[0:1], v[92:93]
	v_fma_f64 v[104:105], v[225:226], s[0:1], -v[94:95]
	v_fma_f64 v[92:93], v[223:224], s[0:1], -v[92:93]
	v_fma_f64 v[94:95], v[225:226], s[0:1], v[94:95]
	v_fma_f64 v[108:109], v[223:224], s[8:9], v[96:97]
	;; [unrolled: 1-line block ×3, first 2 shown]
	v_fma_f64 v[183:184], v[217:218], s[2:3], -v[100:101]
	v_fma_f64 v[98:99], v[215:216], s[2:3], -v[98:99]
	v_fma_f64 v[100:101], v[217:218], s[2:3], v[100:101]
	s_mov_b32 s49, 0x3fe58eea
	s_mov_b32 s39, 0xbfefdd0d
	;; [unrolled: 1-line block ×3, first 2 shown]
	buffer_store_dword v243, off, s[60:63], 0 offset:276 ; 4-byte Folded Spill
	buffer_store_dword v244, off, s[60:63], 0 offset:280 ; 4-byte Folded Spill
	;; [unrolled: 1-line block ×8, first 2 shown]
	v_add_f64 v[50:51], v[152:153], -v[124:125]
	v_add_f64 v[201:202], v[166:167], v[122:123]
	v_add_f64 v[54:55], v[154:155], -v[126:127]
	v_mul_f64 v[243:244], v[207:208], s[38:39]
	v_fma_f64 v[185:186], v[215:216], s[10:11], v[106:107]
	v_add_f64 v[203:204], v[164:165], v[120:121]
	v_mul_f64 v[189:190], v[45:46], s[48:49]
	v_mul_f64 v[193:194], v[62:63], s[48:49]
	v_add_f64 v[102:103], v[134:135], v[102:103]
	v_add_f64 v[104:105], v[132:133], v[104:105]
	;; [unrolled: 1-line block ×5, first 2 shown]
	v_mul_f64 v[245:246], v[197:198], s[22:23]
	v_fma_f64 v[199:200], v[225:226], s[8:9], -v[118:119]
	v_fma_f64 v[247:248], v[209:210], s[8:9], v[114:115]
	v_fma_f64 v[249:250], v[211:212], s[8:9], -v[116:117]
	v_fma_f64 v[114:115], v[209:210], s[8:9], -v[114:115]
	v_fma_f64 v[116:117], v[211:212], s[8:9], v[116:117]
	s_mov_b32 s26, 0x3259b75e
	s_mov_b32 s30, 0x6c9a05f6
	;; [unrolled: 1-line block ×8, first 2 shown]
	buffer_store_dword v251, off, s[60:63], 0 offset:292 ; 4-byte Folded Spill
	buffer_store_dword v252, off, s[60:63], 0 offset:296 ; 4-byte Folded Spill
	buffer_store_dword v253, off, s[60:63], 0 offset:300 ; 4-byte Folded Spill
	buffer_store_dword v254, off, s[60:63], 0 offset:304 ; 4-byte Folded Spill
	v_add_f64 v[60:61], v[156:157], -v[128:129]
	v_add_f64 v[191:192], v[154:155], v[126:127]
	v_add_f64 v[102:103], v[179:180], v[102:103]
	;; [unrolled: 1-line block ×5, first 2 shown]
	v_add_f64 v[58:59], v[158:159], -v[130:131]
	v_add_f64 v[195:196], v[152:153], v[124:125]
	v_mul_f64 v[98:99], v[45:46], s[52:53]
	v_fma_f64 v[100:101], v[209:210], s[26:27], v[243:244]
	v_add_f64 v[108:109], v[185:186], v[108:109]
	v_mul_f64 v[179:180], v[50:51], s[30:31]
	v_mul_f64 v[183:184], v[54:55], s[30:31]
	v_mul_f64 v[251:252], v[213:214], s[38:39]
	v_fma_f64 v[185:186], v[217:218], s[10:11], -v[245:246]
	v_add_f64 v[253:254], v[132:133], v[199:200]
	v_fma_f64 v[0:1], v[201:202], s[40:41], v[189:190]
	v_fma_f64 v[2:3], v[203:204], s[40:41], -v[193:194]
	v_fma_f64 v[4:5], v[201:202], s[40:41], -v[189:190]
	v_fma_f64 v[6:7], v[203:204], s[40:41], v[193:194]
	s_mov_b32 s24, 0x6ed5f1bb
	s_mov_b32 s25, 0xbfe348c8
	v_add_f64 v[56:57], v[148:149], -v[136:137]
	v_add_f64 v[181:182], v[158:159], v[130:131]
	v_add_f64 v[102:103], v[247:248], v[102:103]
	;; [unrolled: 1-line block ×5, first 2 shown]
	v_add_f64 v[199:200], v[150:151], -v[138:139]
	s_mov_b32 s45, 0xbfd71e95
	s_mov_b32 s44, s18
	v_fma_f64 v[116:117], v[201:202], s[24:25], v[98:99]
	v_add_f64 v[100:101], v[100:101], v[108:109]
	v_add_f64 v[189:190], v[156:157], v[128:129]
	v_mul_f64 v[108:109], v[60:61], s[22:23]
	v_mul_f64 v[247:248], v[62:63], s[52:53]
	v_fma_f64 v[249:250], v[211:212], s[26:27], -v[251:252]
	v_add_f64 v[253:254], v[185:186], v[253:254]
	v_mul_f64 v[193:194], v[58:59], s[22:23]
	v_fma_f64 v[8:9], v[191:192], s[24:25], v[179:180]
	v_fma_f64 v[10:11], v[195:196], s[24:25], -v[183:184]
	v_fma_f64 v[179:180], v[191:192], s[24:25], -v[179:180]
	v_mov_b32_e32 v38, v176
	v_mov_b32_e32 v176, v242
	;; [unrolled: 1-line block ×6, first 2 shown]
	v_fma_f64 v[240:241], v[195:196], s[24:25], v[183:184]
	v_add_f64 v[102:103], v[0:1], v[102:103]
	v_add_f64 v[2:3], v[2:3], v[104:105]
	;; [unrolled: 1-line block ×4, first 2 shown]
	v_fma_f64 v[96:97], v[223:224], s[8:9], -v[96:97]
	v_mul_f64 v[114:115], v[50:51], s[44:45]
	s_mov_b32 s36, 0x923c349f
	s_mov_b32 s37, 0xbfeec746
	buffer_store_dword v227, off, s[60:63], 0 offset:104 ; 4-byte Folded Spill
	buffer_store_dword v228, off, s[60:63], 0 offset:108 ; 4-byte Folded Spill
	;; [unrolled: 1-line block ×4, first 2 shown]
	v_add_f64 v[48:49], v[144:145], -v[140:141]
	v_add_f64 v[183:184], v[150:151], v[138:139]
	v_add_f64 v[100:101], v[116:117], v[100:101]
	v_add_f64 v[52:53], v[146:147], -v[142:143]
	v_add_f64 v[185:186], v[148:149], v[136:137]
	v_fma_f64 v[116:117], v[203:204], s[24:25], -v[247:248]
	v_add_f64 v[249:250], v[249:250], v[253:254]
	v_mul_f64 v[253:254], v[56:57], s[36:37]
	v_mul_f64 v[0:1], v[199:200], s[36:37]
	v_fma_f64 v[36:37], v[181:182], s[10:11], v[108:109]
	v_fma_f64 v[227:228], v[189:190], s[10:11], -v[193:194]
	v_fma_f64 v[108:109], v[181:182], s[10:11], -v[108:109]
	v_fma_f64 v[193:194], v[189:190], s[10:11], v[193:194]
	v_add_f64 v[8:9], v[8:9], v[102:103]
	v_add_f64 v[2:3], v[10:11], v[2:3]
	;; [unrolled: 1-line block ×4, first 2 shown]
	v_fma_f64 v[92:93], v[215:216], s[10:11], -v[106:107]
	v_add_f64 v[94:95], v[134:135], v[96:97]
	v_mul_f64 v[96:97], v[60:61], s[16:17]
	v_fma_f64 v[104:105], v[191:192], s[2:3], v[114:115]
	v_mul_f64 v[106:107], v[54:55], s[44:45]
	s_mov_b32 s28, 0xc61f0d01
	s_mov_b32 s29, 0xbfd183b1
	buffer_store_dword v231, off, s[60:63], 0 offset:120 ; 4-byte Folded Spill
	buffer_store_dword v232, off, s[60:63], 0 offset:124 ; 4-byte Folded Spill
	;; [unrolled: 1-line block ×4, first 2 shown]
	v_add_f64 v[112:113], v[146:147], v[142:143]
	v_fma_f64 v[10:11], v[209:210], s[26:27], -v[243:244]
	v_add_f64 v[179:180], v[144:145], v[140:141]
	v_add_f64 v[116:117], v[116:117], v[249:250]
	v_mul_f64 v[243:244], v[48:49], s[54:55]
	v_mul_f64 v[249:250], v[52:53], s[54:55]
	v_fma_f64 v[229:230], v[183:184], s[28:29], v[253:254]
	v_fma_f64 v[231:232], v[185:186], s[28:29], -v[0:1]
	v_fma_f64 v[253:254], v[183:184], s[28:29], -v[253:254]
	v_fma_f64 v[0:1], v[185:186], s[28:29], v[0:1]
	v_add_f64 v[8:9], v[36:37], v[8:9]
	v_add_f64 v[2:3], v[227:228], v[2:3]
	;; [unrolled: 1-line block ×4, first 2 shown]
	buffer_store_dword v235, off, s[60:63], 0 offset:136 ; 4-byte Folded Spill
	buffer_store_dword v236, off, s[60:63], 0 offset:140 ; 4-byte Folded Spill
	v_add_f64 v[92:93], v[92:93], v[94:95]
	v_mul_f64 v[94:95], v[56:57], s[48:49]
	v_fma_f64 v[102:103], v[181:182], s[0:1], v[96:97]
	v_add_f64 v[100:101], v[104:105], v[100:101]
	v_mul_f64 v[104:105], v[58:59], s[16:17]
	v_fma_f64 v[240:241], v[195:196], s[2:3], -v[106:107]
	buffer_store_dword v237, off, s[60:63], 0 offset:144 ; 4-byte Folded Spill
	v_mov_b32_e32 v39, v238
	v_fma_f64 v[118:119], v[225:226], s[8:9], v[118:119]
	v_mul_f64 v[36:37], v[177:178], s[30:31]
	v_fma_f64 v[98:99], v[201:202], s[24:25], -v[98:99]
	v_fma_f64 v[233:234], v[112:113], s[26:27], v[243:244]
	v_fma_f64 v[235:236], v[179:180], s[26:27], -v[249:250]
	v_fma_f64 v[237:238], v[112:113], s[26:27], -v[243:244]
	v_fma_f64 v[243:244], v[179:180], s[26:27], v[249:250]
	s_mov_b32 s35, 0x3feec746
	s_mov_b32 s34, s36
	v_add_f64 v[8:9], v[229:230], v[8:9]
	v_add_f64 v[2:3], v[231:232], v[2:3]
	;; [unrolled: 1-line block ×4, first 2 shown]
	v_mul_f64 v[193:194], v[205:206], s[34:35]
	v_add_f64 v[10:11], v[10:11], v[92:93]
	v_mul_f64 v[92:93], v[48:49], s[36:37]
	v_fma_f64 v[108:109], v[183:184], s[40:41], v[94:95]
	v_add_f64 v[100:101], v[102:103], v[100:101]
	v_mul_f64 v[102:103], v[199:200], s[48:49]
	v_fma_f64 v[227:228], v[189:190], s[0:1], -v[104:105]
	v_add_f64 v[116:117], v[240:241], v[116:117]
	v_mul_f64 v[240:241], v[187:188], s[30:31]
	v_fma_f64 v[245:246], v[217:218], s[10:11], v[245:246]
	v_add_f64 v[118:119], v[132:133], v[118:119]
	v_fma_f64 v[6:7], v[191:192], s[2:3], -v[114:115]
	v_fma_f64 v[114:115], v[223:224], s[24:25], v[36:37]
	v_mul_f64 v[229:230], v[177:178], s[36:37]
	s_mov_b32 s43, 0x3fe0d888
	s_mov_b32 s42, s20
	v_mul_f64 v[231:232], v[207:208], s[44:45]
	v_fma_f64 v[251:252], v[211:212], s[26:27], v[251:252]
	v_add_f64 v[221:222], v[233:234], v[8:9]
	v_add_f64 v[219:220], v[235:236], v[2:3]
	;; [unrolled: 1-line block ×4, first 2 shown]
	v_fma_f64 v[40:41], v[215:216], s[28:29], v[193:194]
	v_add_f64 v[10:11], v[98:99], v[10:11]
	v_fma_f64 v[98:99], v[112:113], s[28:29], v[92:93]
	v_fma_f64 v[36:37], v[223:224], s[24:25], -v[36:37]
	v_add_f64 v[100:101], v[108:109], v[100:101]
	v_fma_f64 v[249:250], v[185:186], s[40:41], -v[102:103]
	v_fma_f64 v[96:97], v[181:182], s[0:1], -v[96:97]
	v_add_f64 v[116:117], v[227:228], v[116:117]
	v_mul_f64 v[227:228], v[197:198], s[34:35]
	v_fma_f64 v[253:254], v[225:226], s[24:25], -v[240:241]
	v_add_f64 v[42:43], v[245:246], v[118:119]
	v_mul_f64 v[108:109], v[52:53], s[36:37]
	v_fma_f64 v[193:194], v[215:216], s[28:29], -v[193:194]
	buffer_store_dword v219, off, s[60:63], 0 offset:164 ; 4-byte Folded Spill
	buffer_store_dword v220, off, s[60:63], 0 offset:168 ; 4-byte Folded Spill
	;; [unrolled: 1-line block ×8, first 2 shown]
	v_fma_f64 v[0:1], v[225:226], s[24:25], v[240:241]
	v_add_f64 v[2:3], v[134:135], v[114:115]
	v_add_f64 v[4:5], v[6:7], v[10:11]
	v_mul_f64 v[6:7], v[205:206], s[42:43]
	v_add_f64 v[221:222], v[98:99], v[100:101]
	v_fma_f64 v[8:9], v[223:224], s[28:29], v[229:230]
	v_mul_f64 v[98:99], v[213:214], s[44:45]
	v_add_f64 v[100:101], v[249:250], v[116:117]
	v_fma_f64 v[116:117], v[217:218], s[28:29], -v[227:228]
	v_fma_f64 v[118:119], v[223:224], s[28:29], -v[229:230]
	v_add_f64 v[229:230], v[132:133], v[253:254]
	v_add_f64 v[36:37], v[134:135], v[36:37]
	v_fma_f64 v[233:234], v[203:204], s[24:25], v[247:248]
	v_add_f64 v[42:43], v[251:252], v[42:43]
	v_mul_f64 v[235:236], v[45:46], s[20:21]
	v_fma_f64 v[237:238], v[209:210], s[2:3], v[231:232]
	v_fma_f64 v[227:228], v[217:218], s[28:29], v[227:228]
	v_mul_f64 v[240:241], v[62:63], s[20:21]
	v_mul_f64 v[114:115], v[187:188], s[36:37]
	s_mov_b32 s47, 0xbfeca52d
	s_mov_b32 s46, s22
	v_fma_f64 v[10:11], v[179:180], s[28:29], -v[108:109]
	v_add_f64 v[0:1], v[132:133], v[0:1]
	v_add_f64 v[2:3], v[40:41], v[2:3]
	v_fma_f64 v[40:41], v[112:113], s[28:29], -v[92:93]
	v_fma_f64 v[92:93], v[183:184], s[40:41], -v[94:95]
	v_add_f64 v[4:5], v[96:97], v[4:5]
	v_mul_f64 v[94:95], v[207:208], s[48:49]
	v_fma_f64 v[96:97], v[215:216], s[8:9], v[6:7]
	v_add_f64 v[8:9], v[134:135], v[8:9]
	v_fma_f64 v[243:244], v[211:212], s[2:3], -v[98:99]
	v_fma_f64 v[6:7], v[215:216], s[8:9], -v[6:7]
	v_add_f64 v[118:119], v[134:135], v[118:119]
	v_add_f64 v[116:117], v[116:117], v[229:230]
	v_fma_f64 v[229:230], v[209:210], s[2:3], -v[231:232]
	v_add_f64 v[36:37], v[193:194], v[36:37]
	v_fma_f64 v[106:107], v[195:196], s[2:3], v[106:107]
	v_add_f64 v[42:43], v[233:234], v[42:43]
	v_mul_f64 v[193:194], v[50:51], s[54:55]
	v_fma_f64 v[231:232], v[201:202], s[8:9], v[235:236]
	v_fma_f64 v[98:99], v[211:212], s[2:3], v[98:99]
	v_mul_f64 v[233:234], v[45:46], s[46:47]
	v_mul_f64 v[245:246], v[197:198], s[42:43]
	v_fma_f64 v[247:248], v[225:226], s[28:29], -v[114:115]
	v_add_f64 v[0:1], v[227:228], v[0:1]
	v_add_f64 v[2:3], v[237:238], v[2:3]
	v_mul_f64 v[227:228], v[54:55], s[54:55]
	s_mov_b32 s51, 0xbfe58eea
	s_mov_b32 s50, s48
	v_fma_f64 v[237:238], v[209:210], s[40:41], v[94:95]
	v_fma_f64 v[94:95], v[209:210], s[40:41], -v[94:95]
	v_add_f64 v[8:9], v[96:97], v[8:9]
	v_fma_f64 v[96:97], v[203:204], s[8:9], -v[240:241]
	v_fma_f64 v[104:105], v[189:190], s[0:1], v[104:105]
	v_add_f64 v[6:7], v[6:7], v[118:119]
	v_add_f64 v[116:117], v[243:244], v[116:117]
	v_add_f64 v[219:220], v[10:11], v[100:101]
	v_fma_f64 v[118:119], v[201:202], s[8:9], -v[235:236]
	v_add_f64 v[36:37], v[229:230], v[36:37]
	v_add_f64 v[42:43], v[106:107], v[42:43]
	;; [unrolled: 1-line block ×3, first 2 shown]
	v_mul_f64 v[92:93], v[60:61], s[50:51]
	v_fma_f64 v[229:230], v[203:204], s[8:9], v[240:241]
	v_mul_f64 v[235:236], v[50:51], s[16:17]
	v_fma_f64 v[240:241], v[201:202], s[10:11], v[233:234]
	v_fma_f64 v[233:234], v[201:202], s[10:11], -v[233:234]
	v_add_f64 v[0:1], v[98:99], v[0:1]
	v_fma_f64 v[98:99], v[191:192], s[26:27], v[193:194]
	v_add_f64 v[2:3], v[231:232], v[2:3]
	v_mul_f64 v[231:232], v[58:59], s[50:51]
	v_mul_f64 v[253:254], v[213:214], s[48:49]
	v_fma_f64 v[249:250], v[217:218], s[8:9], -v[245:246]
	v_add_f64 v[247:248], v[132:133], v[247:248]
	v_add_f64 v[8:9], v[237:238], v[8:9]
	v_fma_f64 v[237:238], v[195:196], s[26:27], -v[227:228]
	buffer_store_dword v219, off, s[60:63], 0 offset:196 ; 4-byte Folded Spill
	buffer_store_dword v220, off, s[60:63], 0 offset:200 ; 4-byte Folded Spill
	;; [unrolled: 1-line block ×4, first 2 shown]
	v_add_f64 v[6:7], v[94:95], v[6:7]
	v_add_f64 v[94:95], v[96:97], v[116:117]
	;; [unrolled: 1-line block ×3, first 2 shown]
	v_fma_f64 v[116:117], v[191:192], s[26:27], -v[193:194]
	v_add_f64 v[36:37], v[118:119], v[36:37]
	v_add_f64 v[221:222], v[40:41], v[4:5]
	v_mul_f64 v[4:5], v[56:57], s[16:17]
	v_fma_f64 v[10:11], v[195:196], s[26:27], v[227:228]
	v_fma_f64 v[40:41], v[181:182], s[40:41], v[92:93]
	v_add_f64 v[0:1], v[229:230], v[0:1]
	v_mul_f64 v[100:101], v[199:200], s[16:17]
	v_add_f64 v[2:3], v[98:99], v[2:3]
	v_fma_f64 v[98:99], v[185:186], s[40:41], v[102:103]
	v_mul_f64 v[102:103], v[60:61], s[54:55]
	v_fma_f64 v[106:107], v[191:192], s[0:1], v[235:236]
	v_fma_f64 v[118:119], v[189:190], s[40:41], -v[231:232]
	v_add_f64 v[8:9], v[240:241], v[8:9]
	v_mul_f64 v[243:244], v[62:63], s[46:47]
	v_fma_f64 v[251:252], v[211:212], s[40:41], -v[253:254]
	v_add_f64 v[247:248], v[249:250], v[247:248]
	v_fma_f64 v[104:105], v[179:180], s[28:29], v[108:109]
	v_fma_f64 v[229:230], v[191:192], s[0:1], -v[235:236]
	v_add_f64 v[6:7], v[233:234], v[6:7]
	v_add_f64 v[233:234], v[237:238], v[94:95]
	v_fma_f64 v[92:93], v[181:182], s[40:41], -v[92:93]
	v_mul_f64 v[108:109], v[48:49], s[22:23]
	v_add_f64 v[36:37], v[116:117], v[36:37]
	v_fma_f64 v[116:117], v[189:190], s[40:41], v[231:232]
	v_mul_f64 v[96:97], v[54:55], s[16:17]
	v_fma_f64 v[114:115], v[225:226], s[28:29], v[114:115]
	v_mul_f64 v[231:232], v[56:57], s[44:45]
	v_add_f64 v[0:1], v[10:11], v[0:1]
	v_fma_f64 v[10:11], v[183:184], s[0:1], v[4:5]
	v_add_f64 v[2:3], v[40:41], v[2:3]
	v_add_f64 v[42:43], v[98:99], v[42:43]
	v_mul_f64 v[40:41], v[52:53], s[22:23]
	v_fma_f64 v[235:236], v[181:182], s[26:27], v[102:103]
	v_fma_f64 v[4:5], v[183:184], s[0:1], -v[4:5]
	v_add_f64 v[8:9], v[106:107], v[8:9]
	v_fma_f64 v[106:107], v[185:186], s[0:1], -v[100:101]
	v_fma_f64 v[193:194], v[203:204], s[10:11], -v[243:244]
	v_add_f64 v[227:228], v[251:252], v[247:248]
	v_fma_f64 v[100:101], v[185:186], s[0:1], v[100:101]
	v_mul_f64 v[237:238], v[177:178], s[38:39]
	v_mul_f64 v[94:95], v[58:59], s[54:55]
	v_add_f64 v[118:119], v[118:119], v[233:234]
	v_fma_f64 v[102:103], v[181:182], s[26:27], -v[102:103]
	v_add_f64 v[6:7], v[229:230], v[6:7]
	v_add_f64 v[36:37], v[92:93], v[36:37]
	v_mul_f64 v[98:99], v[187:188], s[38:39]
	v_fma_f64 v[240:241], v[195:196], s[0:1], -v[96:97]
	v_fma_f64 v[92:93], v[217:218], s[8:9], v[245:246]
	v_add_f64 v[114:115], v[132:133], v[114:115]
	v_add_f64 v[0:1], v[116:117], v[0:1]
	v_fma_f64 v[116:117], v[112:113], s[10:11], v[108:109]
	v_add_f64 v[2:3], v[10:11], v[2:3]
	v_add_f64 v[219:220], v[104:105], v[42:43]
	v_fma_f64 v[108:109], v[112:113], s[10:11], -v[108:109]
	v_mul_f64 v[10:11], v[48:49], s[30:31]
	v_fma_f64 v[229:230], v[183:184], s[2:3], v[231:232]
	v_add_f64 v[8:9], v[235:236], v[8:9]
	v_fma_f64 v[235:236], v[179:180], s[10:11], -v[40:41]
	v_fma_f64 v[40:41], v[179:180], s[10:11], v[40:41]
	v_add_f64 v[193:194], v[193:194], v[227:228]
	v_mul_f64 v[227:228], v[205:206], s[16:17]
	v_fma_f64 v[233:234], v[223:224], s[26:27], v[237:238]
	v_fma_f64 v[245:246], v[189:190], s[26:27], -v[94:95]
	v_add_f64 v[106:107], v[106:107], v[118:119]
	buffer_store_dword v219, off, s[60:63], 0 offset:228 ; 4-byte Folded Spill
	buffer_store_dword v220, off, s[60:63], 0 offset:232 ; 4-byte Folded Spill
	;; [unrolled: 1-line block ×4, first 2 shown]
	v_add_f64 v[4:5], v[4:5], v[36:37]
	v_add_f64 v[0:1], v[100:101], v[0:1]
	;; [unrolled: 1-line block ×3, first 2 shown]
	v_fma_f64 v[231:232], v[183:184], s[2:3], -v[231:232]
	v_add_f64 v[6:7], v[102:103], v[6:7]
	v_mul_f64 v[251:252], v[197:198], s[16:17]
	v_add_f64 v[193:194], v[240:241], v[193:194]
	v_fma_f64 v[118:119], v[225:226], s[26:27], -v[98:99]
	v_mul_f64 v[102:103], v[52:53], s[30:31]
	v_mul_f64 v[249:250], v[199:200], s[44:45]
	v_add_f64 v[219:220], v[235:236], v[106:107]
	buffer_store_dword v219, off, s[60:63], 0 offset:212 ; 4-byte Folded Spill
	buffer_store_dword v220, off, s[60:63], 0 offset:216 ; 4-byte Folded Spill
	;; [unrolled: 1-line block ×4, first 2 shown]
	v_add_f64 v[2:3], v[108:109], v[4:5]
	v_add_f64 v[0:1], v[40:41], v[0:1]
	v_fma_f64 v[36:37], v[211:212], s[40:41], v[253:254]
	v_add_f64 v[240:241], v[92:93], v[114:115]
	v_mul_f64 v[92:93], v[207:208], s[34:35]
	v_fma_f64 v[42:43], v[112:113], s[24:25], v[10:11]
	v_fma_f64 v[104:105], v[215:216], s[0:1], v[227:228]
	v_fma_f64 v[237:238], v[223:224], s[26:27], -v[237:238]
	v_add_f64 v[233:234], v[134:135], v[233:234]
	v_add_f64 v[8:9], v[229:230], v[8:9]
	;; [unrolled: 1-line block ×3, first 2 shown]
	v_fma_f64 v[10:11], v[112:113], s[24:25], -v[10:11]
	v_add_f64 v[114:115], v[231:232], v[6:7]
	v_mul_f64 v[245:246], v[213:214], s[34:35]
	v_fma_f64 v[219:220], v[217:218], s[0:1], -v[251:252]
	v_mul_f64 v[100:101], v[177:178], s[46:47]
	v_add_f64 v[106:107], v[132:133], v[118:119]
	v_mul_f64 v[247:248], v[187:188], s[46:47]
	v_mov_b32_e32 v61, v57
	v_mov_b32_e32 v60, v56
	;; [unrolled: 1-line block ×5, first 2 shown]
	buffer_store_dword v0, off, s[60:63], 0 offset:244 ; 4-byte Folded Spill
	buffer_store_dword v1, off, s[60:63], 0 offset:248 ; 4-byte Folded Spill
	;; [unrolled: 1-line block ×4, first 2 shown]
	v_fma_f64 v[4:5], v[179:180], s[24:25], -v[102:103]
	v_mov_b32_e32 v49, v53
	v_fma_f64 v[229:230], v[185:186], s[2:3], -v[249:250]
	v_fma_f64 v[52:53], v[203:204], s[10:11], v[243:244]
	v_add_f64 v[118:119], v[36:37], v[240:241]
	v_mul_f64 v[253:254], v[45:46], s[18:19]
	v_fma_f64 v[193:194], v[209:210], s[28:29], v[92:93]
	v_fma_f64 v[227:228], v[215:216], s[0:1], -v[227:228]
	v_add_f64 v[108:109], v[134:135], v[237:238]
	v_add_f64 v[104:105], v[104:105], v[233:234]
	;; [unrolled: 1-line block ×3, first 2 shown]
	v_mul_f64 v[243:244], v[62:63], s[18:19]
	v_add_f64 v[0:1], v[134:135], v[170:171]
	v_add_f64 v[2:3], v[132:133], v[168:169]
	;; [unrolled: 1-line block ×3, first 2 shown]
	v_fma_f64 v[6:7], v[225:226], s[26:27], v[98:99]
	v_fma_f64 v[8:9], v[211:212], s[28:29], -v[245:246]
	v_mul_f64 v[10:11], v[205:206], s[30:31]
	v_fma_f64 v[36:37], v[223:224], s[10:11], v[100:101]
	v_add_f64 v[40:41], v[219:220], v[106:107]
	v_mul_f64 v[106:107], v[197:198], s[30:31]
	v_fma_f64 v[114:115], v[225:226], s[10:11], -v[247:248]
	s_mov_b32 s55, 0x3fc7851a
	s_mov_b32 s54, s16
	buffer_store_dword v4, off, s[60:63], 0 offset:308 ; 4-byte Folded Spill
	buffer_store_dword v5, off, s[60:63], 0 offset:312 ; 4-byte Folded Spill
	v_add_f64 v[170:171], v[229:230], v[116:117]
	v_fma_f64 v[4:5], v[195:196], s[0:1], v[96:97]
	v_add_f64 v[42:43], v[52:53], v[118:119]
	v_mul_f64 v[96:97], v[50:51], s[46:47]
	v_fma_f64 v[98:99], v[201:202], s[2:3], v[253:254]
	v_fma_f64 v[92:93], v[209:210], s[28:29], -v[92:93]
	v_add_f64 v[108:109], v[227:228], v[108:109]
	v_add_f64 v[104:105], v[193:194], v[104:105]
	v_mul_f64 v[116:117], v[54:55], s[46:47]
	v_fma_f64 v[118:119], v[203:204], s[2:3], -v[243:244]
	v_add_f64 v[0:1], v[0:1], v[174:175]
	v_add_f64 v[2:3], v[2:3], v[172:173]
	v_fma_f64 v[172:173], v[217:218], s[0:1], v[251:252]
	v_fma_f64 v[100:101], v[223:224], s[10:11], -v[100:101]
	v_add_f64 v[6:7], v[132:133], v[6:7]
	v_mul_f64 v[174:175], v[207:208], s[54:55]
	v_fma_f64 v[193:194], v[215:216], s[24:25], v[10:11]
	v_add_f64 v[36:37], v[134:135], v[36:37]
	v_add_f64 v[8:9], v[8:9], v[40:41]
	v_mul_f64 v[229:230], v[213:214], s[54:55]
	v_fma_f64 v[231:232], v[217:218], s[24:25], -v[106:107]
	v_add_f64 v[114:115], v[132:133], v[114:115]
	v_add_f64 v[52:53], v[156:157], -v[128:129]
	v_fma_f64 v[227:228], v[201:202], s[2:3], -v[253:254]
	v_fma_f64 v[10:11], v[215:216], s[24:25], -v[10:11]
	v_fma_f64 v[94:95], v[189:190], s[26:27], v[94:95]
	v_add_f64 v[4:5], v[4:5], v[42:43]
	v_fma_f64 v[106:107], v[217:218], s[24:25], v[106:107]
	v_add_f64 v[92:93], v[92:93], v[108:109]
	;; [unrolled: 2-line block ×3, first 2 shown]
	v_mul_f64 v[104:105], v[58:59], s[20:21]
	v_add_f64 v[0:1], v[0:1], v[162:163]
	v_add_f64 v[2:3], v[2:3], v[160:161]
	v_fma_f64 v[160:161], v[195:196], s[10:11], -v[116:117]
	v_add_f64 v[100:101], v[134:135], v[100:101]
	v_fma_f64 v[162:163], v[211:212], s[28:29], v[245:246]
	v_add_f64 v[6:7], v[172:173], v[6:7]
	v_fma_f64 v[233:234], v[209:210], s[0:1], v[174:175]
	v_add_f64 v[36:37], v[193:194], v[36:37]
	v_add_f64 v[8:9], v[118:119], v[8:9]
	v_fma_f64 v[118:119], v[225:226], s[10:11], v[247:248]
	v_mul_f64 v[193:194], v[62:63], s[34:35]
	v_fma_f64 v[235:236], v[211:212], s[0:1], -v[229:230]
	v_add_f64 v[114:115], v[231:232], v[114:115]
	v_mul_f64 v[42:43], v[52:53], s[20:21]
	v_mul_f64 v[172:173], v[45:46], s[34:35]
	v_fma_f64 v[96:97], v[191:192], s[10:11], -v[96:97]
	v_fma_f64 v[40:41], v[185:186], s[2:3], v[249:250]
	v_add_f64 v[4:5], v[94:95], v[4:5]
	v_add_f64 v[92:93], v[227:228], v[92:93]
	v_mul_f64 v[94:95], v[60:61], s[52:53]
	v_add_f64 v[98:99], v[108:109], v[98:99]
	v_mul_f64 v[108:109], v[199:200], s[52:53]
	v_add_f64 v[0:1], v[0:1], v[166:167]
	v_add_f64 v[2:3], v[2:3], v[164:165]
	v_fma_f64 v[164:165], v[189:190], s[8:9], -v[104:105]
	v_fma_f64 v[166:167], v[209:210], s[0:1], -v[174:175]
	v_add_f64 v[10:11], v[10:11], v[100:101]
	v_fma_f64 v[100:101], v[203:204], s[2:3], v[243:244]
	v_add_f64 v[6:7], v[162:163], v[6:7]
	v_add_f64 v[36:37], v[233:234], v[36:37]
	;; [unrolled: 1-line block ×4, first 2 shown]
	v_mul_f64 v[233:234], v[54:55], s[48:49]
	v_fma_f64 v[237:238], v[203:204], s[28:29], -v[193:194]
	v_add_f64 v[114:115], v[235:236], v[114:115]
	v_fma_f64 v[227:228], v[181:182], s[8:9], v[42:43]
	v_mul_f64 v[174:175], v[50:51], s[48:49]
	v_fma_f64 v[162:163], v[201:202], s[28:29], v[172:173]
	v_fma_f64 v[42:43], v[181:182], s[8:9], -v[42:43]
	v_fma_f64 v[172:173], v[201:202], s[28:29], -v[172:173]
	v_add_f64 v[92:93], v[96:97], v[92:93]
	v_fma_f64 v[116:117], v[195:196], s[10:11], v[116:117]
	v_fma_f64 v[160:161], v[179:180], s[24:25], v[102:103]
	v_fma_f64 v[235:236], v[185:186], s[24:25], -v[108:109]
	v_add_f64 v[0:1], v[0:1], v[154:155]
	v_add_f64 v[2:3], v[2:3], v[152:153]
	v_fma_f64 v[102:103], v[211:212], s[0:1], v[229:230]
	v_mul_f64 v[229:230], v[58:59], s[44:45]
	v_add_f64 v[10:11], v[166:167], v[10:11]
	v_mov_b32_e32 v241, v111
	v_add_f64 v[6:7], v[100:101], v[6:7]
	v_mov_b32_e32 v111, v255
	v_add_f64 v[8:9], v[164:165], v[8:9]
	v_add_f64 v[106:107], v[106:107], v[118:119]
	v_fma_f64 v[118:119], v[195:196], s[40:41], -v[233:234]
	v_mov_b32_e32 v255, v242
	v_add_f64 v[114:115], v[237:238], v[114:115]
	v_mov_b32_e32 v242, v176
	v_mov_b32_e32 v176, v38
	v_fma_f64 v[96:97], v[183:184], s[24:25], v[94:95]
	v_add_f64 v[98:99], v[227:228], v[98:99]
	v_mul_f64 v[100:101], v[52:53], s[44:45]
	v_fma_f64 v[166:167], v[191:192], s[40:41], v[174:175]
	v_add_f64 v[36:37], v[162:163], v[36:37]
	v_fma_f64 v[94:95], v[183:184], s[24:25], -v[94:95]
	v_mov_b32_e32 v238, v39
	v_add_f64 v[42:43], v[42:43], v[92:93]
	v_add_f64 v[162:163], v[40:41], v[4:5]
	;; [unrolled: 1-line block ×4, first 2 shown]
	v_fma_f64 v[4:5], v[191:192], s[40:41], -v[174:175]
	v_add_f64 v[10:11], v[172:173], v[10:11]
	v_fma_f64 v[40:41], v[189:190], s[8:9], v[104:105]
	v_add_f64 v[6:7], v[116:117], v[6:7]
	v_mul_f64 v[116:117], v[60:61], s[38:39]
	v_add_f64 v[158:159], v[235:236], v[8:9]
	v_mul_f64 v[8:9], v[177:178], s[50:51]
	v_fma_f64 v[172:173], v[203:204], s[28:29], v[193:194]
	v_add_f64 v[106:107], v[102:103], v[106:107]
	v_fma_f64 v[193:194], v[189:190], s[2:3], -v[229:230]
	v_add_f64 v[114:115], v[118:119], v[114:115]
	v_mul_f64 v[38:39], v[177:178], s[44:45]
	v_add_f64 v[154:155], v[96:97], v[98:99]
	v_fma_f64 v[104:105], v[181:182], s[2:3], v[100:101]
	v_mul_f64 v[227:228], v[48:49], s[48:49]
	v_add_f64 v[36:37], v[166:167], v[36:37]
	v_mul_f64 v[177:178], v[197:198], s[50:51]
	v_mul_f64 v[219:220], v[45:46], s[38:39]
	v_add_f64 v[166:167], v[94:95], v[42:43]
	v_fma_f64 v[42:43], v[181:182], s[2:3], -v[100:101]
	v_add_f64 v[0:1], v[0:1], v[150:151]
	v_add_f64 v[2:3], v[2:3], v[148:149]
	v_mul_f64 v[148:149], v[187:188], s[44:45]
	v_mul_f64 v[150:151], v[187:188], s[50:51]
	v_add_f64 v[4:5], v[4:5], v[10:11]
	v_add_f64 v[96:97], v[40:41], v[6:7]
	v_fma_f64 v[100:101], v[183:184], s[26:27], v[116:117]
	v_mul_f64 v[6:7], v[205:206], s[38:39]
	v_fma_f64 v[10:11], v[223:224], s[40:41], -v[8:9]
	v_fma_f64 v[94:95], v[185:186], s[24:25], v[108:109]
	v_add_f64 v[40:41], v[172:173], v[106:107]
	v_mul_f64 v[108:109], v[197:198], s[38:39]
	v_add_f64 v[118:119], v[193:194], v[114:115]
	v_fma_f64 v[114:115], v[183:184], s[26:27], -v[116:117]
	v_mul_f64 v[116:117], v[205:206], s[50:51]
	v_fma_f64 v[172:173], v[223:224], s[2:3], -v[38:39]
	v_fma_f64 v[8:9], v[223:224], s[40:41], v[8:9]
	v_add_f64 v[102:103], v[104:105], v[36:37]
	v_fma_f64 v[36:37], v[195:196], s[40:41], v[233:234]
	v_mul_f64 v[187:188], v[207:208], s[30:31]
	v_fma_f64 v[38:39], v[223:224], s[2:3], v[38:39]
	v_mul_f64 v[207:208], v[207:208], s[46:47]
	v_add_f64 v[0:1], v[0:1], v[146:147]
	v_add_f64 v[2:3], v[2:3], v[144:145]
	v_fma_f64 v[144:145], v[225:226], s[2:3], v[148:149]
	v_fma_f64 v[146:147], v[225:226], s[40:41], v[150:151]
	v_fma_f64 v[150:151], v[225:226], s[40:41], -v[150:151]
	v_fma_f64 v[156:157], v[179:180], s[40:41], -v[227:228]
	v_fma_f64 v[92:93], v[179:180], s[40:41], v[227:228]
	v_fma_f64 v[193:194], v[215:216], s[26:27], -v[6:7]
	v_add_f64 v[10:11], v[134:135], v[10:11]
	v_mul_f64 v[197:198], v[213:214], s[30:31]
	v_fma_f64 v[148:149], v[225:226], s[2:3], -v[148:149]
	v_mul_f64 v[205:206], v[213:214], s[46:47]
	v_fma_f64 v[225:226], v[217:218], s[40:41], v[177:178]
	v_fma_f64 v[6:7], v[215:216], s[26:27], v[6:7]
	v_fma_f64 v[223:224], v[215:216], s[40:41], -v[116:117]
	v_add_f64 v[172:173], v[134:135], v[172:173]
	v_add_f64 v[8:9], v[134:135], v[8:9]
	v_fma_f64 v[116:117], v[215:216], s[40:41], v[116:117]
	v_add_f64 v[36:37], v[36:37], v[40:41]
	v_fma_f64 v[40:41], v[217:218], s[26:27], v[108:109]
	v_fma_f64 v[108:109], v[217:218], s[26:27], -v[108:109]
	v_fma_f64 v[227:228], v[209:210], s[24:25], -v[187:188]
	v_add_f64 v[0:1], v[0:1], v[142:143]
	v_add_f64 v[2:3], v[2:3], v[140:141]
	;; [unrolled: 1-line block ×4, first 2 shown]
	v_mul_f64 v[144:145], v[45:46], s[16:17]
	v_add_f64 v[150:151], v[132:133], v[150:151]
	v_add_f64 v[38:39], v[134:135], v[38:39]
	v_fma_f64 v[134:135], v[217:218], s[40:41], -v[177:178]
	v_add_f64 v[10:11], v[193:194], v[10:11]
	v_fma_f64 v[177:178], v[209:210], s[10:11], -v[207:208]
	v_mul_f64 v[146:147], v[62:63], s[16:17]
	v_fma_f64 v[193:194], v[211:212], s[24:25], v[197:198]
	v_add_f64 v[132:133], v[132:133], v[148:149]
	v_mul_f64 v[148:149], v[62:63], s[38:39]
	v_fma_f64 v[215:216], v[211:212], s[10:11], v[205:206]
	v_add_f64 v[172:173], v[223:224], v[172:173]
	v_mov_b32_e32 v240, v44
	v_mov_b32_e32 v44, v52
	;; [unrolled: 1-line block ×3, first 2 shown]
	v_add_f64 v[6:7], v[6:7], v[8:9]
	v_mul_f64 v[231:232], v[56:57], s[48:49]
	v_mul_f64 v[174:175], v[199:200], s[38:39]
	v_add_f64 v[0:1], v[0:1], v[138:139]
	v_add_f64 v[2:3], v[2:3], v[136:137]
	;; [unrolled: 1-line block ×4, first 2 shown]
	v_fma_f64 v[142:143], v[211:212], s[24:25], -v[197:198]
	v_add_f64 v[108:109], v[108:109], v[150:151]
	v_fma_f64 v[150:151], v[201:202], s[0:1], -v[144:145]
	v_mul_f64 v[197:198], v[50:51], s[36:37]
	v_add_f64 v[10:11], v[227:228], v[10:11]
	v_add_f64 v[38:39], v[116:117], v[38:39]
	v_fma_f64 v[116:117], v[211:212], s[10:11], -v[205:206]
	v_fma_f64 v[205:206], v[201:202], s[26:27], -v[219:220]
	v_mul_f64 v[138:139], v[50:51], s[42:43]
	v_fma_f64 v[140:141], v[209:210], s[24:25], v[187:188]
	v_fma_f64 v[187:188], v[203:204], s[0:1], v[146:147]
	v_add_f64 v[172:173], v[177:178], v[172:173]
	v_add_f64 v[132:133], v[134:135], v[132:133]
	v_mul_f64 v[134:135], v[54:55], s[36:37]
	v_fma_f64 v[177:178], v[203:204], s[26:27], v[148:149]
	v_fma_f64 v[148:149], v[203:204], s[26:27], -v[148:149]
	buffer_load_dword v237, off, s[60:63], 0 offset:144 ; 4-byte Folded Reload
	v_fma_f64 v[152:153], v[112:113], s[40:41], v[231:232]
	v_add_f64 v[0:1], v[0:1], v[130:131]
	v_add_f64 v[2:3], v[2:3], v[128:129]
	;; [unrolled: 1-line block ×4, first 2 shown]
	v_fma_f64 v[136:137], v[201:202], s[0:1], v[144:145]
	v_fma_f64 v[193:194], v[201:202], s[26:27], v[219:220]
	v_mul_f64 v[130:131], v[44:45], s[34:35]
	v_fma_f64 v[201:202], v[191:192], s[28:29], -v[197:198]
	v_add_f64 v[10:11], v[150:151], v[10:11]
	v_mul_f64 v[150:151], v[44:45], s[30:31]
	v_fma_f64 v[144:145], v[203:204], s[0:1], -v[146:147]
	v_add_f64 v[108:109], v[142:143], v[108:109]
	v_fma_f64 v[142:143], v[191:192], s[8:9], -v[138:139]
	v_add_f64 v[6:7], v[140:141], v[6:7]
	v_mul_f64 v[140:141], v[58:59], s[34:35]
	v_add_f64 v[172:173], v[205:206], v[172:173]
	v_add_f64 v[116:117], v[116:117], v[132:133]
	v_mul_f64 v[132:133], v[58:59], s[30:31]
	v_fma_f64 v[203:204], v[195:196], s[28:29], v[134:135]
	s_clause 0x1
	buffer_load_dword v236, off, s[60:63], 0 offset:140
	buffer_load_dword v235, off, s[60:63], 0 offset:136
	v_fma_f64 v[164:165], v[112:113], s[40:41], -v[231:232]
	s_clause 0x3
	buffer_load_dword v231, off, s[60:63], 0 offset:120
	buffer_load_dword v232, off, s[60:63], 0 offset:124
	;; [unrolled: 1-line block ×4, first 2 shown]
	v_fma_f64 v[106:107], v[185:186], s[26:27], -v[174:175]
	v_add_f64 v[2:3], v[2:3], v[124:125]
	v_add_f64 v[124:125], v[177:178], v[128:129]
	;; [unrolled: 1-line block ×4, first 2 shown]
	v_fma_f64 v[42:43], v[185:186], s[26:27], v[174:175]
	v_fma_f64 v[174:175], v[189:190], s[2:3], v[229:230]
	s_clause 0x3
	buffer_load_dword v227, off, s[60:63], 0 offset:104
	buffer_load_dword v228, off, s[60:63], 0 offset:108
	;; [unrolled: 1-line block ×4, first 2 shown]
	v_fma_f64 v[128:129], v[191:192], s[8:9], v[138:139]
	v_fma_f64 v[187:188], v[181:182], s[24:25], -v[150:151]
	v_fma_f64 v[138:139], v[181:182], s[28:29], -v[130:131]
	v_fma_f64 v[177:178], v[191:192], s[28:29], v[197:198]
	v_add_f64 v[10:11], v[142:143], v[10:11]
	v_fma_f64 v[207:208], v[209:210], s[10:11], v[207:208]
	v_fma_f64 v[142:143], v[189:190], s[28:29], v[140:141]
	v_add_f64 v[172:173], v[201:202], v[172:173]
	v_mov_b32_e32 v44, v60
	v_fma_f64 v[191:192], v[189:190], s[24:25], v[132:133]
	v_fma_f64 v[132:133], v[189:190], s[24:25], -v[132:133]
	v_mov_b32_e32 v45, v61
	v_add_f64 v[108:109], v[144:145], v[108:109]
	v_mul_f64 v[8:9], v[54:55], s[42:43]
	v_add_f64 v[6:7], v[136:137], v[6:7]
	v_add_f64 v[2:3], v[2:3], v[120:121]
	;; [unrolled: 1-line block ×3, first 2 shown]
	v_fma_f64 v[124:125], v[181:182], s[28:29], v[130:131]
	v_fma_f64 v[130:131], v[189:190], s[28:29], -v[140:141]
	v_mul_f64 v[144:145], v[44:45], s[20:21]
	v_fma_f64 v[134:135], v[195:196], s[28:29], -v[134:135]
	v_add_f64 v[116:117], v[148:149], v[116:117]
	v_mul_f64 v[148:149], v[199:200], s[20:21]
	v_add_f64 v[0:1], v[0:1], v[126:127]
	v_mul_f64 v[126:127], v[44:45], s[22:23]
	v_mov_b32_e32 v44, v48
	v_add_f64 v[10:11], v[138:139], v[10:11]
	v_add_f64 v[38:39], v[207:208], v[38:39]
	v_fma_f64 v[138:139], v[181:182], s[24:25], v[150:151]
	v_add_f64 v[172:173], v[187:188], v[172:173]
	s_clause 0x3
	buffer_load_dword v187, off, s[60:63], 0 offset:292
	buffer_load_dword v188, off, s[60:63], 0 offset:296
	;; [unrolled: 1-line block ×4, first 2 shown]
	v_mov_b32_e32 v45, v49
	v_mul_f64 v[104:105], v[48:49], s[20:21]
	v_add_f64 v[36:37], v[174:175], v[36:37]
	v_add_f64 v[174:175], v[114:115], v[4:5]
	v_fma_f64 v[146:147], v[195:196], s[8:9], v[8:9]
	v_fma_f64 v[8:9], v[195:196], s[8:9], -v[8:9]
	v_add_f64 v[6:7], v[128:129], v[6:7]
	v_mul_f64 v[128:129], v[44:45], s[18:19]
	v_mul_f64 v[150:151], v[44:45], s[16:17]
	v_add_f64 v[114:115], v[100:101], v[102:103]
	v_mul_f64 v[136:137], v[199:200], s[22:23]
	v_mul_f64 v[98:99], v[56:57], s[20:21]
	v_add_f64 v[116:117], v[134:135], v[116:117]
	v_fma_f64 v[181:182], v[185:186], s[8:9], v[148:149]
	v_add_f64 v[0:1], v[0:1], v[122:123]
	v_fma_f64 v[4:5], v[183:184], s[10:11], v[126:127]
	v_fma_f64 v[148:149], v[185:186], s[8:9], -v[148:149]
	v_add_f64 v[118:119], v[106:107], v[118:119]
	v_add_f64 v[38:39], v[193:194], v[38:39]
	v_fma_f64 v[134:135], v[179:180], s[8:9], v[104:105]
	v_add_f64 v[40:41], v[146:147], v[40:41]
	v_add_f64 v[8:9], v[8:9], v[108:109]
	v_fma_f64 v[108:109], v[183:184], s[10:11], -v[126:127]
	v_add_f64 v[126:127], v[124:125], v[6:7]
	v_fma_f64 v[124:125], v[179:180], s[0:1], v[150:151]
	v_add_f64 v[6:7], v[42:43], v[36:37]
	v_mov_b32_e32 v147, v57
	v_mov_b32_e32 v146, v56
	v_fma_f64 v[140:141], v[185:186], s[10:11], v[136:137]
	v_mul_f64 v[122:123], v[146:147], s[18:19]
	v_mul_f64 v[146:147], v[146:147], s[16:17]
	v_add_f64 v[38:39], v[177:178], v[38:39]
	v_fma_f64 v[177:178], v[183:184], s[8:9], -v[144:145]
	v_fma_f64 v[144:145], v[183:184], s[8:9], v[144:145]
	v_add_f64 v[183:184], v[132:133], v[116:117]
	v_add_f64 v[132:133], v[94:95], v[96:97]
	v_fma_f64 v[116:117], v[179:180], s[8:9], -v[104:105]
	v_fma_f64 v[104:105], v[179:180], s[2:3], -v[128:129]
	;; [unrolled: 1-line block ×3, first 2 shown]
	v_add_f64 v[40:41], v[142:143], v[40:41]
	v_add_f64 v[8:9], v[130:131], v[8:9]
	v_fma_f64 v[142:143], v[112:113], s[8:9], -v[98:99]
	v_add_f64 v[102:103], v[4:5], v[126:127]
	v_add_f64 v[4:5], v[164:165], v[166:167]
	;; [unrolled: 1-line block ×5, first 2 shown]
	v_fma_f64 v[130:131], v[112:113], s[2:3], -v[122:123]
	v_fma_f64 v[100:101], v[112:113], s[2:3], v[122:123]
	v_add_f64 v[38:39], v[138:139], v[38:39]
	v_add_f64 v[172:173], v[177:178], v[172:173]
	buffer_load_dword v178, off, s[60:63], 0 offset:160 ; 4-byte Folded Reload
	v_mov_b32_e32 v177, v47
	s_clause 0x3
	buffer_load_dword v44, off, s[60:63], 0 offset:276
	buffer_load_dword v45, off, s[60:63], 0 offset:280
	;; [unrolled: 1-line block ×4, first 2 shown]
	v_add_f64 v[102:103], v[100:101], v[102:103]
	v_add_f64 v[94:95], v[144:145], v[38:39]
	s_waitcnt vmcnt(7)
	v_add_f64 v[2:3], v[2:3], v[187:188]
	v_add_f64 v[187:188], v[191:192], v[120:121]
	v_fma_f64 v[120:121], v[179:180], s[2:3], v[128:129]
	s_waitcnt vmcnt(5)
	v_add_f64 v[0:1], v[0:1], v[189:190]
	v_add_f64 v[191:192], v[108:109], v[10:11]
	v_fma_f64 v[189:190], v[185:186], s[10:11], -v[136:137]
	v_fma_f64 v[185:186], v[112:113], s[0:1], -v[146:147]
	v_add_f64 v[136:137], v[140:141], v[40:41]
	v_fma_f64 v[108:109], v[112:113], s[8:9], v[98:99]
	v_fma_f64 v[10:11], v[112:113], s[0:1], v[146:147]
	v_add_f64 v[98:99], v[148:149], v[183:184]
	v_add_f64 v[112:113], v[116:117], v[118:119]
	;; [unrolled: 1-line block ×3, first 2 shown]
	s_clause 0x6
	buffer_load_dword v181, off, s[60:63], 0 offset:152
	buffer_load_dword v180, off, s[60:63], 0 offset:156
	;; [unrolled: 1-line block ×7, first 2 shown]
	v_add_f64 v[122:123], v[130:131], v[191:192]
	v_add_f64 v[126:127], v[185:186], v[172:173]
	;; [unrolled: 1-line block ×9, first 2 shown]
	s_waitcnt vmcnt(7)
	v_add_f64 v[0:1], v[0:1], v[46:47]
	v_add_f64 v[2:3], v[2:3], v[44:45]
	s_waitcnt vmcnt(0)
	v_add_f64 v[130:131], v[0:1], v[38:39]
	s_clause 0x1
	buffer_load_dword v0, off, s[60:63], 0 offset:308
	buffer_load_dword v1, off, s[60:63], 0 offset:312
	v_add_f64 v[128:129], v[2:3], v[36:37]
	v_add_f64 v[2:3], v[92:93], v[132:133]
	v_add_f64 v[132:133], v[156:157], v[158:159]
	v_add_f64 v[92:93], v[96:97], v[98:99]
	s_waitcnt vmcnt(0)
	v_add_f64 v[219:220], v[0:1], v[170:171]
	buffer_load_dword v1, off, s[60:63], 0 offset:4 ; 4-byte Folded Reload
	v_mul_lo_u16 v0, v242, 17
	v_and_b32_e32 v0, 0xffff, v0
	s_waitcnt vmcnt(0)
	v_lshl_add_u32 v0, v0, 4, v1
	ds_write_b128 v0, v[128:131]
	ds_write_b128 v0, v[124:127] offset:16
	ds_write_b128 v0, v[120:123] offset:32
	;; [unrolled: 1-line block ×5, first 2 shown]
	s_clause 0x3
	buffer_load_dword v1, off, s[60:63], 0 offset:244
	buffer_load_dword v2, off, s[60:63], 0 offset:248
	buffer_load_dword v3, off, s[60:63], 0 offset:252
	buffer_load_dword v4, off, s[60:63], 0 offset:256
	s_waitcnt vmcnt(0)
	ds_write_b128 v0, v[1:4] offset:96
	s_clause 0x3
	buffer_load_dword v1, off, s[60:63], 0 offset:228
	buffer_load_dword v2, off, s[60:63], 0 offset:232
	buffer_load_dword v3, off, s[60:63], 0 offset:236
	buffer_load_dword v4, off, s[60:63], 0 offset:240
	s_waitcnt vmcnt(0)
	ds_write_b128 v0, v[1:4] offset:112
	;; [unrolled: 7-line block ×6, first 2 shown]
	ds_write_b128 v0, v[219:222] offset:192
	ds_write_b128 v0, v[132:135] offset:208
	;; [unrolled: 1-line block ×5, first 2 shown]
.LBB0_13:
	s_or_b32 exec_lo, exec_lo, s33
	s_waitcnt lgkmcnt(0)
	s_waitcnt_vscnt null, 0x0
	s_barrier
	buffer_gl0_inv
	ds_read_b128 v[0:3], v239 offset:3808
	ds_read_b128 v[4:7], v239 offset:4352
	;; [unrolled: 1-line block ×8, first 2 shown]
	s_clause 0x13
	buffer_load_dword v52, off, s[60:63], 0 offset:48
	buffer_load_dword v53, off, s[60:63], 0 offset:52
	;; [unrolled: 1-line block ×20, first 2 shown]
	ds_read_b128 v[116:119], v239
	ds_read_b128 v[120:123], v239 offset:544
	ds_read_b128 v[124:127], v239 offset:1088
	;; [unrolled: 1-line block ×5, first 2 shown]
	s_waitcnt vmcnt(0) lgkmcnt(0)
	s_barrier
	buffer_gl0_inv
	s_mov_b32 s8, 0x37e14327
	s_mov_b32 s0, 0x36b3c0b5
	;; [unrolled: 1-line block ×3, first 2 shown]
	v_mul_f64 v[36:37], v[233:234], v[2:3]
	v_mul_f64 v[38:39], v[233:234], v[0:1]
	;; [unrolled: 1-line block ×4, first 2 shown]
	s_mov_b32 s9, 0x3fe948f6
	s_mov_b32 s1, 0x3fac98ee
	;; [unrolled: 1-line block ×15, first 2 shown]
	v_fma_f64 v[0:1], v[231:232], v[0:1], v[36:37]
	v_fma_f64 v[2:3], v[231:232], v[2:3], -v[38:39]
	v_fma_f64 v[4:5], v[227:228], v[4:5], v[40:41]
	v_fma_f64 v[6:7], v[227:228], v[6:7], -v[42:43]
	v_add_f64 v[0:1], v[116:117], -v[0:1]
	v_add_f64 v[2:3], v[118:119], -v[2:3]
	;; [unrolled: 1-line block ×4, first 2 shown]
	v_mul_f64 v[108:109], v[54:55], v[10:11]
	v_mul_f64 v[54:55], v[54:55], v[8:9]
	;; [unrolled: 1-line block ×10, first 2 shown]
	v_fma_f64 v[8:9], v[52:53], v[8:9], v[108:109]
	v_fma_f64 v[10:11], v[52:53], v[10:11], -v[54:55]
	v_fma_f64 v[36:37], v[56:57], v[92:93], v[140:141]
	v_fma_f64 v[38:39], v[56:57], v[94:95], -v[58:59]
	v_fma_f64 v[40:41], v[60:61], v[96:97], v[142:143]
	v_fma_f64 v[42:43], v[60:61], v[98:99], -v[62:63]
	v_fma_f64 v[52:53], v[48:49], v[100:101], v[144:145]
	v_fma_f64 v[48:49], v[48:49], v[102:103], -v[50:51]
	v_fma_f64 v[50:51], v[44:45], v[104:105], v[146:147]
	v_fma_f64 v[54:55], v[44:45], v[106:107], -v[46:47]
	v_fma_f64 v[56:57], v[120:121], 2.0, -v[4:5]
	v_fma_f64 v[58:59], v[122:123], 2.0, -v[6:7]
	v_add_f64 v[8:9], v[124:125], -v[8:9]
	v_add_f64 v[10:11], v[126:127], -v[10:11]
	;; [unrolled: 1-line block ×10, first 2 shown]
	v_fma_f64 v[52:53], v[116:117], 2.0, -v[0:1]
	v_fma_f64 v[54:55], v[118:119], 2.0, -v[2:3]
	;; [unrolled: 1-line block ×12, first 2 shown]
	ds_write_b128 v111, v[0:3] offset:272
	ds_write_b128 v111, v[52:55]
	ds_write_b128 v240, v[56:59]
	ds_write_b128 v240, v[4:7] offset:272
	ds_write_b128 v238, v[60:63]
	ds_write_b128 v238, v[8:11] offset:272
	;; [unrolled: 2-line block ×6, first 2 shown]
	s_waitcnt lgkmcnt(0)
	s_barrier
	buffer_gl0_inv
	ds_read_b128 v[0:3], v239 offset:1088
	ds_read_b128 v[4:7], v239 offset:2176
	;; [unrolled: 1-line block ×12, first 2 shown]
	s_waitcnt lgkmcnt(11)
	v_mul_f64 v[100:101], v[22:23], v[2:3]
	v_mul_f64 v[102:103], v[22:23], v[0:1]
	s_waitcnt lgkmcnt(10)
	v_mul_f64 v[104:105], v[18:19], v[6:7]
	v_mul_f64 v[106:107], v[18:19], v[4:5]
	;; [unrolled: 3-line block ×10, first 2 shown]
	v_fma_f64 v[100:101], v[20:21], v[0:1], v[100:101]
	v_fma_f64 v[102:103], v[20:21], v[2:3], -v[102:103]
	v_fma_f64 v[104:105], v[16:17], v[4:5], v[104:105]
	v_fma_f64 v[106:107], v[16:17], v[6:7], -v[106:107]
	;; [unrolled: 2-line block ×4, first 2 shown]
	s_waitcnt lgkmcnt(1)
	v_mul_f64 v[0:1], v[14:15], v[94:95]
	v_mul_f64 v[2:3], v[14:15], v[92:93]
	s_waitcnt lgkmcnt(0)
	v_mul_f64 v[4:5], v[26:27], v[98:99]
	v_mul_f64 v[6:7], v[26:27], v[96:97]
	v_fma_f64 v[14:15], v[12:13], v[40:41], v[117:118]
	v_fma_f64 v[26:27], v[12:13], v[42:43], -v[119:120]
	v_fma_f64 v[40:41], v[24:25], v[44:45], v[121:122]
	v_fma_f64 v[42:43], v[24:25], v[46:47], -v[123:124]
	;; [unrolled: 2-line block ×6, first 2 shown]
	v_add_f64 v[34:35], v[100:101], v[8:9]
	v_add_f64 v[46:47], v[102:103], v[10:11]
	;; [unrolled: 1-line block ×4, first 2 shown]
	v_fma_f64 v[52:53], v[12:13], v[92:93], v[0:1]
	v_fma_f64 v[12:13], v[12:13], v[94:95], -v[2:3]
	v_fma_f64 v[54:55], v[24:25], v[96:97], v[4:5]
	v_fma_f64 v[24:25], v[24:25], v[98:99], -v[6:7]
	v_add_f64 v[36:37], v[104:105], -v[36:37]
	v_add_f64 v[38:39], v[106:107], -v[38:39]
	v_add_f64 v[56:57], v[14:15], v[40:41]
	v_add_f64 v[58:59], v[26:27], v[42:43]
	v_add_f64 v[14:15], v[40:41], -v[14:15]
	v_add_f64 v[26:27], v[42:43], -v[26:27]
	;; [unrolled: 1-line block ×4, first 2 shown]
	v_add_f64 v[40:41], v[44:45], v[18:19]
	v_add_f64 v[42:43], v[20:21], v[28:29]
	v_add_f64 v[18:19], v[44:45], -v[18:19]
	v_add_f64 v[20:21], v[20:21], -v[28:29]
	v_add_f64 v[28:29], v[22:23], v[30:31]
	v_add_f64 v[44:45], v[16:17], v[32:33]
	v_add_f64 v[22:23], v[22:23], -v[30:31]
	v_add_f64 v[16:17], v[16:17], -v[32:33]
	v_add_f64 v[60:61], v[48:49], v[34:35]
	v_add_f64 v[62:63], v[50:51], v[46:47]
	ds_read_b128 v[0:3], v239
	ds_read_b128 v[4:7], v239 offset:544
	s_waitcnt lgkmcnt(0)
	v_add_f64 v[30:31], v[52:53], v[54:55]
	v_add_f64 v[32:33], v[12:13], v[24:25]
	v_add_f64 v[52:53], v[54:55], -v[52:53]
	v_add_f64 v[12:13], v[24:25], -v[12:13]
	;; [unrolled: 1-line block ×8, first 2 shown]
	v_add_f64 v[92:93], v[14:15], v[36:37]
	v_add_f64 v[94:95], v[26:27], v[38:39]
	v_add_f64 v[96:97], v[14:15], -v[36:37]
	v_add_f64 v[98:99], v[26:27], -v[38:39]
	v_add_f64 v[100:101], v[28:29], v[40:41]
	v_add_f64 v[102:103], v[44:45], v[42:43]
	v_add_f64 v[36:37], v[36:37], -v[8:9]
	v_add_f64 v[38:39], v[38:39], -v[10:11]
	;; [unrolled: 4-line block ×3, first 2 shown]
	v_add_f64 v[40:41], v[40:41], -v[30:31]
	v_add_f64 v[42:43], v[42:43], -v[32:33]
	;; [unrolled: 1-line block ×6, first 2 shown]
	v_add_f64 v[104:105], v[52:53], v[22:23]
	v_add_f64 v[106:107], v[12:13], v[16:17]
	v_add_f64 v[22:23], v[22:23], -v[18:19]
	v_add_f64 v[16:17], v[16:17], -v[20:21]
	;; [unrolled: 1-line block ×4, first 2 shown]
	v_mul_f64 v[34:35], v[34:35], s[8:9]
	v_mul_f64 v[46:47], v[46:47], s[8:9]
	v_add_f64 v[30:31], v[30:31], v[100:101]
	v_add_f64 v[32:33], v[32:33], v[102:103]
	v_mul_f64 v[100:101], v[48:49], s[0:1]
	v_mul_f64 v[102:103], v[50:51], s[0:1]
	v_add_f64 v[0:1], v[0:1], v[56:57]
	v_add_f64 v[2:3], v[2:3], v[58:59]
	;; [unrolled: 1-line block ×4, first 2 shown]
	v_mul_f64 v[92:93], v[96:97], s[10:11]
	v_mul_f64 v[94:95], v[98:99], s[10:11]
	;; [unrolled: 1-line block ×4, first 2 shown]
	v_add_f64 v[52:53], v[18:19], -v[52:53]
	v_add_f64 v[12:13], v[20:21], -v[12:13]
	v_mul_f64 v[40:41], v[40:41], s[8:9]
	v_mul_f64 v[42:43], v[42:43], s[8:9]
	;; [unrolled: 1-line block ×4, first 2 shown]
	v_add_f64 v[18:19], v[104:105], v[18:19]
	v_add_f64 v[20:21], v[106:107], v[20:21]
	v_mul_f64 v[104:105], v[28:29], s[0:1]
	v_mul_f64 v[106:107], v[44:45], s[0:1]
	v_add_f64 v[4:5], v[4:5], v[30:31]
	v_add_f64 v[6:7], v[6:7], v[32:33]
	v_mul_f64 v[113:114], v[22:23], s[2:3]
	v_mul_f64 v[115:116], v[16:17], s[2:3]
	v_fma_f64 v[48:49], v[48:49], s[0:1], v[34:35]
	v_fma_f64 v[50:51], v[50:51], s[0:1], v[46:47]
	;; [unrolled: 1-line block ×4, first 2 shown]
	v_fma_f64 v[100:101], v[24:25], s[18:19], -v[100:101]
	v_fma_f64 v[102:103], v[54:55], s[18:19], -v[102:103]
	v_fma_f64 v[24:25], v[24:25], s[22:23], -v[34:35]
	v_fma_f64 v[34:35], v[54:55], s[22:23], -v[46:47]
	v_fma_f64 v[46:47], v[14:15], s[20:21], v[92:93]
	v_fma_f64 v[54:55], v[26:27], s[20:21], v[94:95]
	v_fma_f64 v[14:15], v[14:15], s[24:25], -v[96:97]
	v_fma_f64 v[26:27], v[26:27], s[24:25], -v[98:99]
	;; [unrolled: 1-line block ×4, first 2 shown]
	v_fma_f64 v[28:29], v[28:29], s[0:1], v[40:41]
	v_fma_f64 v[44:45], v[44:45], s[0:1], v[42:43]
	;; [unrolled: 1-line block ×6, first 2 shown]
	v_fma_f64 v[92:93], v[60:61], s[18:19], -v[104:105]
	v_fma_f64 v[94:95], v[62:63], s[18:19], -v[106:107]
	v_fma_f64 v[40:41], v[60:61], s[22:23], -v[40:41]
	v_fma_f64 v[42:43], v[62:63], s[22:23], -v[42:43]
	v_fma_f64 v[12:13], v[12:13], s[24:25], -v[115:116]
	v_fma_f64 v[52:53], v[52:53], s[24:25], -v[113:114]
	v_fma_f64 v[16:17], v[16:17], s[2:3], -v[111:112]
	v_fma_f64 v[22:23], v[22:23], s[2:3], -v[108:109]
	s_mov_b32 s0, 0x37c3f68c
	s_mov_b32 s1, 0xbfdc38aa
	v_add_f64 v[48:49], v[48:49], v[56:57]
	v_add_f64 v[50:51], v[50:51], v[58:59]
	v_fma_f64 v[54:55], v[10:11], s[0:1], v[54:55]
	v_fma_f64 v[46:47], v[8:9], s[0:1], v[46:47]
	v_add_f64 v[60:61], v[100:101], v[56:57]
	v_add_f64 v[24:25], v[24:25], v[56:57]
	;; [unrolled: 1-line block ×3, first 2 shown]
	v_fma_f64 v[26:27], v[10:11], s[0:1], v[26:27]
	v_fma_f64 v[56:57], v[8:9], s[0:1], v[14:15]
	v_add_f64 v[62:63], v[102:103], v[58:59]
	v_fma_f64 v[38:39], v[10:11], s[0:1], v[38:39]
	v_fma_f64 v[36:37], v[8:9], s[0:1], v[36:37]
	v_add_f64 v[58:59], v[28:29], v[30:31]
	v_add_f64 v[100:101], v[44:45], v[32:33]
	v_fma_f64 v[96:97], v[20:21], s[0:1], v[96:97]
	v_fma_f64 v[98:99], v[18:19], s[0:1], v[98:99]
	v_add_f64 v[44:45], v[92:93], v[30:31]
	v_add_f64 v[92:93], v[94:95], v[32:33]
	;; [unrolled: 1-line block ×4, first 2 shown]
	v_fma_f64 v[104:105], v[20:21], s[0:1], v[12:13]
	v_fma_f64 v[52:53], v[18:19], s[0:1], v[52:53]
	;; [unrolled: 1-line block ×4, first 2 shown]
	v_add_f64 v[8:9], v[54:55], v[48:49]
	v_add_f64 v[10:11], v[50:51], -v[46:47]
	v_add_f64 v[28:29], v[48:49], -v[54:55]
	v_add_f64 v[30:31], v[46:47], v[50:51]
	s_barrier
	v_add_f64 v[12:13], v[26:27], v[24:25]
	v_add_f64 v[14:15], v[34:35], -v[56:57]
	v_add_f64 v[24:25], v[24:25], -v[26:27]
	;; [unrolled: 1-line block ×3, first 2 shown]
	v_add_f64 v[18:19], v[36:37], v[62:63]
	v_add_f64 v[20:21], v[38:39], v[60:61]
	v_add_f64 v[22:23], v[62:63], -v[36:37]
	v_add_f64 v[26:27], v[56:57], v[34:35]
	v_add_f64 v[32:33], v[96:97], v[58:59]
	v_add_f64 v[34:35], v[100:101], -v[98:99]
	v_add_f64 v[54:55], v[98:99], v[100:101]
	buffer_gl0_inv
	s_and_b32 s0, exec_lo, vcc_lo
	v_add_f64 v[36:37], v[104:105], v[94:95]
	v_add_f64 v[38:39], v[102:103], -v[52:53]
	v_add_f64 v[40:41], v[44:45], -v[106:107]
	v_add_f64 v[42:43], v[108:109], v[92:93]
	v_add_f64 v[44:45], v[106:107], v[44:45]
	v_add_f64 v[46:47], v[92:93], -v[108:109]
	v_add_f64 v[48:49], v[94:95], -v[104:105]
	v_add_f64 v[50:51], v[52:53], v[102:103]
	v_add_f64 v[52:53], v[58:59], -v[96:97]
	ds_write_b128 v239, v[0:3]
	ds_write_b128 v239, v[8:11] offset:544
	ds_write_b128 v239, v[12:15] offset:1088
	;; [unrolled: 1-line block ×13, first 2 shown]
	s_waitcnt lgkmcnt(0)
	s_barrier
	buffer_gl0_inv
	ds_read_b128 v[0:3], v239 offset:3808
	ds_read_b128 v[4:7], v239 offset:4352
	;; [unrolled: 1-line block ×8, first 2 shown]
	ds_read_b128 v[32:35], v239
	ds_read_b128 v[36:39], v239 offset:544
	ds_read_b128 v[40:43], v239 offset:1088
	;; [unrolled: 1-line block ×5, first 2 shown]
	s_waitcnt lgkmcnt(13)
	v_mul_f64 v[56:57], v[70:71], v[2:3]
	v_mul_f64 v[58:59], v[70:71], v[0:1]
	s_waitcnt lgkmcnt(12)
	v_mul_f64 v[60:61], v[66:67], v[6:7]
	v_mul_f64 v[62:63], v[66:67], v[4:5]
	;; [unrolled: 3-line block ×7, first 2 shown]
	v_fma_f64 v[0:1], v[68:69], v[0:1], v[56:57]
	v_fma_f64 v[2:3], v[68:69], v[2:3], -v[58:59]
	v_fma_f64 v[4:5], v[64:65], v[4:5], v[60:61]
	v_fma_f64 v[6:7], v[64:65], v[6:7], -v[62:63]
	;; [unrolled: 2-line block ×7, first 2 shown]
	s_waitcnt lgkmcnt(5)
	v_add_f64 v[0:1], v[32:33], -v[0:1]
	v_add_f64 v[2:3], v[34:35], -v[2:3]
	s_waitcnt lgkmcnt(4)
	v_add_f64 v[4:5], v[36:37], -v[4:5]
	v_add_f64 v[6:7], v[38:39], -v[6:7]
	;; [unrolled: 3-line block ×6, first 2 shown]
	v_add_f64 v[24:25], v[28:29], -v[24:25]
	v_add_f64 v[26:27], v[30:31], -v[26:27]
	v_fma_f64 v[32:33], v[32:33], 2.0, -v[0:1]
	v_fma_f64 v[34:35], v[34:35], 2.0, -v[2:3]
	;; [unrolled: 1-line block ×14, first 2 shown]
	ds_write_b128 v110, v[0:3] offset:3808
	ds_write_b128 v110, v[4:7] offset:4352
	ds_write_b128 v110, v[32:35]
	ds_write_b128 v110, v[36:39] offset:544
	ds_write_b128 v110, v[40:43] offset:1088
	ds_write_b128 v181, v[8:11] offset:3808
	ds_write_b128 v110, v[44:47] offset:1632
	ds_write_b128 v180, v[12:15] offset:3808
	ds_write_b128 v110, v[48:51] offset:2176
	ds_write_b128 v179, v[16:19] offset:3808
	ds_write_b128 v110, v[52:55] offset:2720
	ds_write_b128 v178, v[20:23] offset:3808
	ds_write_b128 v110, v[28:31] offset:3264
	ds_write_b128 v177, v[24:27] offset:3808
	s_waitcnt lgkmcnt(0)
	s_barrier
	buffer_gl0_inv
	s_clause 0x1
	buffer_load_dword v17, off, s[60:63], 0 offset:8
	buffer_load_dword v18, off, s[60:63], 0 offset:12
	s_mov_b32 exec_lo, s0
	s_cbranch_execz .LBB0_15
; %bb.14:
	global_load_dwordx4 v[3:6], v255, s[12:13]
	ds_read_b128 v[7:10], v110
	s_clause 0x1
	buffer_load_dword v0, off, s[60:63], 0
	buffer_load_dword v1, off, s[60:63], 0 offset:100
	s_waitcnt vmcnt(4)
	v_mad_u64_u32 v[15:16], null, s6, v17, 0
	s_mov_b32 s0, 0x1135c811
	s_mov_b32 s1, 0x3f6135c8
	s_mul_i32 s2, s5, 0x1c0
	s_mul_hi_u32 s6, s4, 0x1c0
	s_mul_i32 s3, s4, 0x1c0
	s_add_i32 s2, s6, s2
	v_add_co_u32 v21, s6, s12, v255
	v_add_co_ci_u32_e64 v22, null, s13, 0, s6
	s_waitcnt vmcnt(0)
	v_lshl_add_u32 v2, v0, 4, v1
	s_waitcnt lgkmcnt(0)
	v_mul_f64 v[0:1], v[9:10], v[5:6]
	v_mul_f64 v[5:6], v[7:8], v[5:6]
	ds_read_b128 v[11:14], v2 offset:448
	v_fma_f64 v[0:1], v[7:8], v[3:4], v[0:1]
	v_fma_f64 v[5:6], v[3:4], v[9:10], -v[5:6]
	v_mad_u64_u32 v[7:8], null, s4, v242, 0
	v_mov_b32_e32 v3, v16
	v_mov_b32_e32 v4, v8
	v_mad_u64_u32 v[8:9], null, s7, v17, v[3:4]
	v_mov_b32_e32 v16, v8
	v_mad_u64_u32 v[9:10], null, s5, v242, v[4:5]
	v_mul_f64 v[3:4], v[0:1], s[0:1]
	v_mul_f64 v[5:6], v[5:6], s[0:1]
	v_lshlrev_b64 v[0:1], 4, v[15:16]
	v_mov_b32_e32 v8, v9
	v_add_co_u32 v0, vcc_lo, s14, v0
	v_add_co_ci_u32_e32 v1, vcc_lo, s15, v1, vcc_lo
	v_lshlrev_b64 v[7:8], 4, v[7:8]
	v_add_co_u32 v7, vcc_lo, v0, v7
	v_add_co_ci_u32_e32 v8, vcc_lo, v1, v8, vcc_lo
	v_add_co_u32 v15, vcc_lo, v7, s3
	global_store_dwordx4 v[7:8], v[3:6], off
	global_load_dwordx4 v[3:6], v255, s[12:13] offset:448
	v_add_co_ci_u32_e32 v16, vcc_lo, s2, v8, vcc_lo
	s_waitcnt vmcnt(0) lgkmcnt(0)
	v_mul_f64 v[9:10], v[13:14], v[5:6]
	v_mul_f64 v[5:6], v[11:12], v[5:6]
	v_fma_f64 v[9:10], v[11:12], v[3:4], v[9:10]
	v_fma_f64 v[5:6], v[3:4], v[13:14], -v[5:6]
	v_mul_f64 v[3:4], v[9:10], s[0:1]
	v_mul_f64 v[5:6], v[5:6], s[0:1]
	global_store_dwordx4 v[15:16], v[3:6], off
	global_load_dwordx4 v[3:6], v255, s[12:13] offset:896
	ds_read_b128 v[7:10], v2 offset:896
	ds_read_b128 v[11:14], v2 offset:1344
	s_waitcnt vmcnt(0) lgkmcnt(1)
	v_mul_f64 v[17:18], v[9:10], v[5:6]
	v_mul_f64 v[5:6], v[7:8], v[5:6]
	v_fma_f64 v[7:8], v[7:8], v[3:4], v[17:18]
	v_fma_f64 v[5:6], v[3:4], v[9:10], -v[5:6]
	v_mul_f64 v[3:4], v[7:8], s[0:1]
	v_mul_f64 v[5:6], v[5:6], s[0:1]
	v_add_co_u32 v7, vcc_lo, v15, s3
	v_add_co_ci_u32_e32 v8, vcc_lo, s2, v16, vcc_lo
	v_add_co_u32 v15, vcc_lo, v7, s3
	v_add_co_ci_u32_e32 v16, vcc_lo, s2, v8, vcc_lo
	global_store_dwordx4 v[7:8], v[3:6], off
	global_load_dwordx4 v[3:6], v255, s[12:13] offset:1344
	s_waitcnt vmcnt(0) lgkmcnt(0)
	v_mul_f64 v[9:10], v[13:14], v[5:6]
	v_mul_f64 v[5:6], v[11:12], v[5:6]
	v_fma_f64 v[9:10], v[11:12], v[3:4], v[9:10]
	v_fma_f64 v[5:6], v[3:4], v[13:14], -v[5:6]
	v_mul_f64 v[3:4], v[9:10], s[0:1]
	v_mul_f64 v[5:6], v[5:6], s[0:1]
	global_store_dwordx4 v[15:16], v[3:6], off
	global_load_dwordx4 v[3:6], v255, s[12:13] offset:1792
	ds_read_b128 v[7:10], v2 offset:1792
	ds_read_b128 v[11:14], v2 offset:2240
	s_waitcnt vmcnt(0) lgkmcnt(1)
	v_mul_f64 v[17:18], v[9:10], v[5:6]
	v_mul_f64 v[5:6], v[7:8], v[5:6]
	v_fma_f64 v[7:8], v[7:8], v[3:4], v[17:18]
	v_fma_f64 v[5:6], v[3:4], v[9:10], -v[5:6]
	v_mul_f64 v[3:4], v[7:8], s[0:1]
	v_mul_f64 v[5:6], v[5:6], s[0:1]
	v_add_co_u32 v7, vcc_lo, v15, s3
	v_add_co_ci_u32_e32 v8, vcc_lo, s2, v16, vcc_lo
	v_add_co_u32 v15, vcc_lo, 0x800, v21
	v_add_co_ci_u32_e32 v16, vcc_lo, 0, v22, vcc_lo
	;; [unrolled: 2-line block ×3, first 2 shown]
	global_store_dwordx4 v[7:8], v[3:6], off
	global_load_dwordx4 v[3:6], v[15:16], off offset:192
	s_waitcnt vmcnt(0) lgkmcnt(0)
	v_mul_f64 v[9:10], v[13:14], v[5:6]
	v_mul_f64 v[5:6], v[11:12], v[5:6]
	v_fma_f64 v[9:10], v[11:12], v[3:4], v[9:10]
	v_fma_f64 v[5:6], v[3:4], v[13:14], -v[5:6]
	v_mul_f64 v[3:4], v[9:10], s[0:1]
	v_mul_f64 v[5:6], v[5:6], s[0:1]
	global_store_dwordx4 v[17:18], v[3:6], off
	global_load_dwordx4 v[3:6], v[15:16], off offset:640
	ds_read_b128 v[7:10], v2 offset:2688
	ds_read_b128 v[11:14], v2 offset:3136
	buffer_load_dword v23, off, s[60:63], 0 offset:96 ; 4-byte Folded Reload
	s_waitcnt vmcnt(1) lgkmcnt(1)
	v_mul_f64 v[19:20], v[9:10], v[5:6]
	v_mul_f64 v[5:6], v[7:8], v[5:6]
	v_fma_f64 v[7:8], v[7:8], v[3:4], v[19:20]
	v_fma_f64 v[5:6], v[3:4], v[9:10], -v[5:6]
	v_mul_f64 v[3:4], v[7:8], s[0:1]
	v_mul_f64 v[5:6], v[5:6], s[0:1]
	v_add_co_u32 v7, vcc_lo, v17, s3
	v_add_co_ci_u32_e32 v8, vcc_lo, s2, v18, vcc_lo
	v_add_co_u32 v17, vcc_lo, v7, s3
	v_add_co_ci_u32_e32 v18, vcc_lo, s2, v8, vcc_lo
	global_store_dwordx4 v[7:8], v[3:6], off
	global_load_dwordx4 v[3:6], v[15:16], off offset:1088
	s_waitcnt vmcnt(1)
	v_lshlrev_b32_e32 v7, 4, v23
	s_waitcnt vmcnt(0) lgkmcnt(0)
	v_mul_f64 v[9:10], v[13:14], v[5:6]
	v_mul_f64 v[5:6], v[11:12], v[5:6]
	v_fma_f64 v[9:10], v[11:12], v[3:4], v[9:10]
	v_fma_f64 v[5:6], v[3:4], v[13:14], -v[5:6]
	v_mul_f64 v[3:4], v[9:10], s[0:1]
	v_mul_f64 v[5:6], v[5:6], s[0:1]
	global_store_dwordx4 v[17:18], v[3:6], off
	global_load_dwordx4 v[3:6], v7, s[12:13]
	ds_read_b128 v[7:10], v2 offset:3584
	ds_read_b128 v[11:14], v2 offset:4032
	s_waitcnt vmcnt(0) lgkmcnt(1)
	v_mul_f64 v[19:20], v[9:10], v[5:6]
	v_mul_f64 v[5:6], v[7:8], v[5:6]
	v_fma_f64 v[7:8], v[7:8], v[3:4], v[19:20]
	v_fma_f64 v[5:6], v[3:4], v[9:10], -v[5:6]
	v_mad_u64_u32 v[9:10], null, s4, v23, 0
	v_mov_b32_e32 v3, v10
	v_mad_u64_u32 v[19:20], null, s5, v23, v[3:4]
	v_mul_f64 v[3:4], v[7:8], s[0:1]
	v_mul_f64 v[5:6], v[5:6], s[0:1]
	v_mov_b32_e32 v10, v19
	v_lshlrev_b64 v[7:8], 4, v[9:10]
	v_add_co_u32 v7, vcc_lo, v0, v7
	v_add_co_ci_u32_e32 v8, vcc_lo, v1, v8, vcc_lo
	global_store_dwordx4 v[7:8], v[3:6], off
	global_load_dwordx4 v[3:6], v[15:16], off offset:1984
	v_mad_u64_u32 v[15:16], null, 0x380, s4, v[17:18]
	v_add_co_u32 v17, vcc_lo, 0x1000, v21
	v_add_co_ci_u32_e32 v18, vcc_lo, 0, v22, vcc_lo
	s_waitcnt vmcnt(0) lgkmcnt(0)
	v_mul_f64 v[7:8], v[13:14], v[5:6]
	v_mul_f64 v[5:6], v[11:12], v[5:6]
	v_fma_f64 v[7:8], v[11:12], v[3:4], v[7:8]
	v_fma_f64 v[5:6], v[3:4], v[13:14], -v[5:6]
	v_mul_f64 v[3:4], v[7:8], s[0:1]
	v_mul_f64 v[5:6], v[5:6], s[0:1]
	v_mov_b32_e32 v7, v16
	v_mad_u64_u32 v[7:8], null, 0x380, s5, v[7:8]
	v_mov_b32_e32 v16, v7
	global_store_dwordx4 v[15:16], v[3:6], off
	global_load_dwordx4 v[3:6], v[17:18], off offset:384
	ds_read_b128 v[7:10], v2 offset:4480
	ds_read_b128 v[11:14], v2 offset:4928
	s_waitcnt vmcnt(0) lgkmcnt(1)
	v_mul_f64 v[19:20], v[9:10], v[5:6]
	v_mul_f64 v[5:6], v[7:8], v[5:6]
	v_fma_f64 v[7:8], v[7:8], v[3:4], v[19:20]
	v_fma_f64 v[5:6], v[3:4], v[9:10], -v[5:6]
	v_mul_f64 v[3:4], v[7:8], s[0:1]
	v_mul_f64 v[5:6], v[5:6], s[0:1]
	v_add_co_u32 v7, vcc_lo, v15, s3
	v_add_co_ci_u32_e32 v8, vcc_lo, s2, v16, vcc_lo
	v_add_co_u32 v15, vcc_lo, v7, s3
	v_add_co_ci_u32_e32 v16, vcc_lo, s2, v8, vcc_lo
	global_store_dwordx4 v[7:8], v[3:6], off
	global_load_dwordx4 v[3:6], v[17:18], off offset:832
	s_waitcnt vmcnt(0) lgkmcnt(0)
	v_mul_f64 v[9:10], v[13:14], v[5:6]
	v_mul_f64 v[5:6], v[11:12], v[5:6]
	v_fma_f64 v[9:10], v[11:12], v[3:4], v[9:10]
	v_fma_f64 v[5:6], v[3:4], v[13:14], -v[5:6]
	v_mul_f64 v[3:4], v[9:10], s[0:1]
	v_mul_f64 v[5:6], v[5:6], s[0:1]
	global_store_dwordx4 v[15:16], v[3:6], off
	global_load_dwordx4 v[3:6], v[17:18], off offset:1280
	ds_read_b128 v[7:10], v2 offset:5376
	ds_read_b128 v[11:14], v2 offset:5824
	s_waitcnt vmcnt(0) lgkmcnt(1)
	v_mul_f64 v[19:20], v[9:10], v[5:6]
	v_mul_f64 v[5:6], v[7:8], v[5:6]
	v_fma_f64 v[7:8], v[7:8], v[3:4], v[19:20]
	v_fma_f64 v[5:6], v[3:4], v[9:10], -v[5:6]
	v_mul_f64 v[3:4], v[7:8], s[0:1]
	v_mul_f64 v[5:6], v[5:6], s[0:1]
	v_add_co_u32 v7, vcc_lo, v15, s3
	v_add_co_ci_u32_e32 v8, vcc_lo, s2, v16, vcc_lo
	v_add_co_u32 v15, vcc_lo, v7, s3
	v_add_co_ci_u32_e32 v16, vcc_lo, s2, v8, vcc_lo
	global_store_dwordx4 v[7:8], v[3:6], off
	global_load_dwordx4 v[3:6], v[17:18], off offset:1728
	v_add_co_u32 v17, vcc_lo, 0x1800, v21
	v_add_co_ci_u32_e32 v18, vcc_lo, 0, v22, vcc_lo
	s_waitcnt vmcnt(0) lgkmcnt(0)
	v_mul_f64 v[9:10], v[13:14], v[5:6]
	v_mul_f64 v[5:6], v[11:12], v[5:6]
	v_fma_f64 v[9:10], v[11:12], v[3:4], v[9:10]
	v_fma_f64 v[5:6], v[3:4], v[13:14], -v[5:6]
	v_mul_f64 v[3:4], v[9:10], s[0:1]
	v_mul_f64 v[5:6], v[5:6], s[0:1]
	global_store_dwordx4 v[15:16], v[3:6], off
	global_load_dwordx4 v[3:6], v[17:18], off offset:128
	ds_read_b128 v[7:10], v2 offset:6272
	ds_read_b128 v[11:14], v2 offset:6720
	s_waitcnt vmcnt(0) lgkmcnt(1)
	v_mul_f64 v[19:20], v[9:10], v[5:6]
	v_mul_f64 v[5:6], v[7:8], v[5:6]
	v_fma_f64 v[7:8], v[7:8], v[3:4], v[19:20]
	v_fma_f64 v[5:6], v[3:4], v[9:10], -v[5:6]
	v_mul_f64 v[3:4], v[7:8], s[0:1]
	v_mul_f64 v[5:6], v[5:6], s[0:1]
	v_add_co_u32 v7, vcc_lo, v15, s3
	v_add_co_ci_u32_e32 v8, vcc_lo, s2, v16, vcc_lo
	global_store_dwordx4 v[7:8], v[3:6], off
	global_load_dwordx4 v[3:6], v[17:18], off offset:576
	v_add_co_u32 v7, vcc_lo, v7, s3
	v_add_co_ci_u32_e32 v8, vcc_lo, s2, v8, vcc_lo
	s_waitcnt vmcnt(0) lgkmcnt(0)
	v_mul_f64 v[9:10], v[13:14], v[5:6]
	v_mul_f64 v[5:6], v[11:12], v[5:6]
	v_fma_f64 v[9:10], v[11:12], v[3:4], v[9:10]
	v_fma_f64 v[5:6], v[3:4], v[13:14], -v[5:6]
	v_mul_f64 v[3:4], v[9:10], s[0:1]
	v_mul_f64 v[5:6], v[5:6], s[0:1]
	v_lshlrev_b32_e32 v9, 4, v241
	global_store_dwordx4 v[7:8], v[3:6], off
	global_load_dwordx4 v[3:6], v9, s[12:13]
	ds_read_b128 v[7:10], v2 offset:7168
	s_waitcnt vmcnt(0) lgkmcnt(0)
	v_mul_f64 v[11:12], v[9:10], v[5:6]
	v_mul_f64 v[5:6], v[7:8], v[5:6]
	v_fma_f64 v[7:8], v[7:8], v[3:4], v[11:12]
	v_fma_f64 v[4:5], v[3:4], v[9:10], -v[5:6]
	v_mad_u64_u32 v[9:10], null, s4, v241, 0
	v_mov_b32_e32 v2, v10
	v_mad_u64_u32 v[10:11], null, s5, v241, v[2:3]
	v_mul_f64 v[2:3], v[7:8], s[0:1]
	v_mul_f64 v[4:5], v[4:5], s[0:1]
	v_lshlrev_b64 v[6:7], 4, v[9:10]
	v_add_co_u32 v0, vcc_lo, v0, v6
	v_add_co_ci_u32_e32 v1, vcc_lo, v1, v7, vcc_lo
	global_store_dwordx4 v[0:1], v[2:5], off
.LBB0_15:
	s_endpgm
	.section	.rodata,"a",@progbits
	.p2align	6, 0x0
	.amdhsa_kernel bluestein_single_back_len476_dim1_dp_op_CI_CI
		.amdhsa_group_segment_fixed_size 22848
		.amdhsa_private_segment_fixed_size 320
		.amdhsa_kernarg_size 104
		.amdhsa_user_sgpr_count 6
		.amdhsa_user_sgpr_private_segment_buffer 1
		.amdhsa_user_sgpr_dispatch_ptr 0
		.amdhsa_user_sgpr_queue_ptr 0
		.amdhsa_user_sgpr_kernarg_segment_ptr 1
		.amdhsa_user_sgpr_dispatch_id 0
		.amdhsa_user_sgpr_flat_scratch_init 0
		.amdhsa_user_sgpr_private_segment_size 0
		.amdhsa_wavefront_size32 1
		.amdhsa_uses_dynamic_stack 0
		.amdhsa_system_sgpr_private_segment_wavefront_offset 1
		.amdhsa_system_sgpr_workgroup_id_x 1
		.amdhsa_system_sgpr_workgroup_id_y 0
		.amdhsa_system_sgpr_workgroup_id_z 0
		.amdhsa_system_sgpr_workgroup_info 0
		.amdhsa_system_vgpr_workitem_id 0
		.amdhsa_next_free_vgpr 256
		.amdhsa_next_free_sgpr 64
		.amdhsa_reserve_vcc 1
		.amdhsa_reserve_flat_scratch 0
		.amdhsa_float_round_mode_32 0
		.amdhsa_float_round_mode_16_64 0
		.amdhsa_float_denorm_mode_32 3
		.amdhsa_float_denorm_mode_16_64 3
		.amdhsa_dx10_clamp 1
		.amdhsa_ieee_mode 1
		.amdhsa_fp16_overflow 0
		.amdhsa_workgroup_processor_mode 1
		.amdhsa_memory_ordered 1
		.amdhsa_forward_progress 0
		.amdhsa_shared_vgpr_count 0
		.amdhsa_exception_fp_ieee_invalid_op 0
		.amdhsa_exception_fp_denorm_src 0
		.amdhsa_exception_fp_ieee_div_zero 0
		.amdhsa_exception_fp_ieee_overflow 0
		.amdhsa_exception_fp_ieee_underflow 0
		.amdhsa_exception_fp_ieee_inexact 0
		.amdhsa_exception_int_div_zero 0
	.end_amdhsa_kernel
	.text
.Lfunc_end0:
	.size	bluestein_single_back_len476_dim1_dp_op_CI_CI, .Lfunc_end0-bluestein_single_back_len476_dim1_dp_op_CI_CI
                                        ; -- End function
	.section	.AMDGPU.csdata,"",@progbits
; Kernel info:
; codeLenInByte = 27624
; NumSgprs: 66
; NumVgprs: 256
; ScratchSize: 320
; MemoryBound: 0
; FloatMode: 240
; IeeeMode: 1
; LDSByteSize: 22848 bytes/workgroup (compile time only)
; SGPRBlocks: 8
; VGPRBlocks: 31
; NumSGPRsForWavesPerEU: 66
; NumVGPRsForWavesPerEU: 256
; Occupancy: 4
; WaveLimiterHint : 1
; COMPUTE_PGM_RSRC2:SCRATCH_EN: 1
; COMPUTE_PGM_RSRC2:USER_SGPR: 6
; COMPUTE_PGM_RSRC2:TRAP_HANDLER: 0
; COMPUTE_PGM_RSRC2:TGID_X_EN: 1
; COMPUTE_PGM_RSRC2:TGID_Y_EN: 0
; COMPUTE_PGM_RSRC2:TGID_Z_EN: 0
; COMPUTE_PGM_RSRC2:TIDIG_COMP_CNT: 0
	.text
	.p2alignl 6, 3214868480
	.fill 48, 4, 3214868480
	.type	__hip_cuid_850a78d0d6caabf0,@object ; @__hip_cuid_850a78d0d6caabf0
	.section	.bss,"aw",@nobits
	.globl	__hip_cuid_850a78d0d6caabf0
__hip_cuid_850a78d0d6caabf0:
	.byte	0                               ; 0x0
	.size	__hip_cuid_850a78d0d6caabf0, 1

	.ident	"AMD clang version 19.0.0git (https://github.com/RadeonOpenCompute/llvm-project roc-6.4.0 25133 c7fe45cf4b819c5991fe208aaa96edf142730f1d)"
	.section	".note.GNU-stack","",@progbits
	.addrsig
	.addrsig_sym __hip_cuid_850a78d0d6caabf0
	.amdgpu_metadata
---
amdhsa.kernels:
  - .args:
      - .actual_access:  read_only
        .address_space:  global
        .offset:         0
        .size:           8
        .value_kind:     global_buffer
      - .actual_access:  read_only
        .address_space:  global
        .offset:         8
        .size:           8
        .value_kind:     global_buffer
      - .actual_access:  read_only
        .address_space:  global
        .offset:         16
        .size:           8
        .value_kind:     global_buffer
      - .actual_access:  read_only
        .address_space:  global
        .offset:         24
        .size:           8
        .value_kind:     global_buffer
      - .actual_access:  read_only
        .address_space:  global
        .offset:         32
        .size:           8
        .value_kind:     global_buffer
      - .offset:         40
        .size:           8
        .value_kind:     by_value
      - .address_space:  global
        .offset:         48
        .size:           8
        .value_kind:     global_buffer
      - .address_space:  global
        .offset:         56
        .size:           8
        .value_kind:     global_buffer
      - .address_space:  global
        .offset:         64
        .size:           8
        .value_kind:     global_buffer
      - .address_space:  global
        .offset:         72
        .size:           8
        .value_kind:     global_buffer
      - .offset:         80
        .size:           4
        .value_kind:     by_value
      - .address_space:  global
        .offset:         88
        .size:           8
        .value_kind:     global_buffer
      - .address_space:  global
        .offset:         96
        .size:           8
        .value_kind:     global_buffer
    .group_segment_fixed_size: 22848
    .kernarg_segment_align: 8
    .kernarg_segment_size: 104
    .language:       OpenCL C
    .language_version:
      - 2
      - 0
    .max_flat_workgroup_size: 102
    .name:           bluestein_single_back_len476_dim1_dp_op_CI_CI
    .private_segment_fixed_size: 320
    .sgpr_count:     66
    .sgpr_spill_count: 0
    .symbol:         bluestein_single_back_len476_dim1_dp_op_CI_CI.kd
    .uniform_work_group_size: 1
    .uses_dynamic_stack: false
    .vgpr_count:     256
    .vgpr_spill_count: 79
    .wavefront_size: 32
    .workgroup_processor_mode: 1
amdhsa.target:   amdgcn-amd-amdhsa--gfx1030
amdhsa.version:
  - 1
  - 2
...

	.end_amdgpu_metadata
